;; amdgpu-corpus repo=ROCm/rocFFT kind=compiled arch=gfx906 opt=O3
	.text
	.amdgcn_target "amdgcn-amd-amdhsa--gfx906"
	.amdhsa_code_object_version 6
	.protected	bluestein_single_fwd_len3600_dim1_half_op_CI_CI ; -- Begin function bluestein_single_fwd_len3600_dim1_half_op_CI_CI
	.globl	bluestein_single_fwd_len3600_dim1_half_op_CI_CI
	.p2align	8
	.type	bluestein_single_fwd_len3600_dim1_half_op_CI_CI,@function
bluestein_single_fwd_len3600_dim1_half_op_CI_CI: ; @bluestein_single_fwd_len3600_dim1_half_op_CI_CI
; %bb.0:
	s_load_dwordx4 s[16:19], s[4:5], 0x28
	v_mul_u32_u24_e32 v1, 0x223, v0
	v_add_u32_sdwa v64, s6, v1 dst_sel:DWORD dst_unused:UNUSED_PAD src0_sel:DWORD src1_sel:WORD_1
	v_mov_b32_e32 v65, 0
	s_waitcnt lgkmcnt(0)
	v_cmp_gt_u64_e32 vcc, s[16:17], v[64:65]
	s_and_saveexec_b64 s[0:1], vcc
	s_cbranch_execz .LBB0_2
; %bb.1:
	s_load_dwordx4 s[8:11], s[4:5], 0x18
	s_load_dwordx4 s[0:3], s[4:5], 0x0
	s_movk_i32 s17, 0x78
	v_mul_lo_u16_sdwa v1, v1, s17 dst_sel:DWORD dst_unused:UNUSED_PAD src0_sel:WORD_1 src1_sel:DWORD
	v_sub_u16_e32 v109, v0, v1
	s_waitcnt lgkmcnt(0)
	s_load_dwordx4 s[12:15], s[8:9], 0x0
	v_lshlrev_b32_e32 v113, 2, v109
	global_load_dword v111, v113, s[0:1]
	s_movk_i32 s16, 0x1000
	s_movk_i32 s20, 0x3000
	s_waitcnt lgkmcnt(0)
	v_mad_u64_u32 v[0:1], s[6:7], s14, v64, 0
	v_mad_u64_u32 v[2:3], s[6:7], s12, v109, 0
	s_mul_i32 s8, s13, 0x5a0
	s_mul_hi_u32 s14, s12, 0x5a0
	v_mad_u64_u32 v[4:5], s[6:7], s15, v64, v[1:2]
	s_mul_i32 s15, s12, 0x5a0
	v_mov_b32_e32 v80, 0xffffcf40
	v_mad_u64_u32 v[5:6], s[6:7], s13, v109, v[3:4]
	v_mov_b32_e32 v1, v4
	v_lshlrev_b64 v[0:1], 2, v[0:1]
	v_mov_b32_e32 v3, v5
	v_mov_b32_e32 v4, s19
	v_add_co_u32_e32 v0, vcc, s18, v0
	v_lshlrev_b64 v[2:3], 2, v[2:3]
	v_addc_co_u32_e32 v1, vcc, v4, v1, vcc
	s_add_u32 s6, s0, 0x3840
	v_add_co_u32_e32 v2, vcc, v0, v2
	s_addc_u32 s7, s1, 0
	v_addc_co_u32_e32 v3, vcc, v1, v3, vcc
	s_add_i32 s14, s14, s8
	global_load_dword v6, v[2:3], off
	v_mov_b32_e32 v5, s14
	v_add_co_u32_e32 v2, vcc, s15, v2
	v_addc_co_u32_e32 v3, vcc, v3, v5, vcc
	global_load_dword v7, v[2:3], off
	global_load_dword v108, v113, s[0:1] offset:1440
	v_add_co_u32_e32 v2, vcc, s15, v2
	v_addc_co_u32_e32 v3, vcc, v3, v5, vcc
	v_mov_b32_e32 v4, s1
	v_add_co_u32_e32 v9, vcc, s0, v113
	global_load_dword v8, v[2:3], off
	global_load_dword v106, v113, s[0:1] offset:2880
	v_addc_co_u32_e32 v10, vcc, 0, v4, vcc
	v_mov_b32_e32 v4, s14
	v_add_co_u32_e32 v2, vcc, s15, v2
	v_addc_co_u32_e32 v3, vcc, v3, v4, vcc
	v_add_co_u32_e32 v4, vcc, s16, v9
	global_load_dword v11, v[2:3], off
	v_addc_co_u32_e32 v5, vcc, 0, v10, vcc
	global_load_dword v104, v[4:5], off offset:224
	v_mov_b32_e32 v12, s14
	v_add_co_u32_e32 v2, vcc, s15, v2
	v_addc_co_u32_e32 v3, vcc, v3, v12, vcc
	global_load_dword v12, v[2:3], off
	global_load_dword v102, v[4:5], off offset:1664
	v_mov_b32_e32 v13, s14
	v_add_co_u32_e32 v2, vcc, s15, v2
	v_addc_co_u32_e32 v3, vcc, v3, v13, vcc
	global_load_dword v13, v[2:3], off
	global_load_dword v100, v[4:5], off offset:3104
	s_load_dwordx4 s[8:11], s[10:11], 0x0
	global_load_dword v95, v113, s[0:1] offset:480
	global_load_dword v94, v113, s[0:1] offset:1920
	;; [unrolled: 1-line block ×5, first 2 shown]
	v_mov_b32_e32 v14, s14
	v_add_co_u32_e32 v2, vcc, s15, v2
	v_addc_co_u32_e32 v3, vcc, v3, v14, vcc
	global_load_dword v14, v[2:3], off
	s_movk_i32 s19, 0x2000
	s_mul_i32 s18, s13, 0xffffcf40
	s_sub_i32 s18, s18, s12
	v_or_b32_e32 v88, 0x780, v109
	v_mov_b32_e32 v21, s14
	v_lshlrev_b32_e32 v120, 2, v88
	v_mov_b32_e32 v85, 0xb40
	v_mov_b32_e32 v22, s14
	v_add_u32_e32 v99, 0x600, v113
	v_add_u32_e32 v122, 0xc00, v113
	;; [unrolled: 1-line block ×18, first 2 shown]
	s_movk_i32 s21, 0x63
	s_load_dwordx2 s[4:5], s[4:5], 0x38
	s_waitcnt vmcnt(16)
	v_lshrrev_b32_e32 v15, 16, v6
	v_mul_f16_sdwa v16, v111, v6 dst_sel:DWORD dst_unused:UNUSED_PAD src0_sel:WORD_1 src1_sel:DWORD
	v_mul_f16_sdwa v17, v111, v15 dst_sel:DWORD dst_unused:UNUSED_PAD src0_sel:WORD_1 src1_sel:DWORD
	v_fma_f16 v15, v111, v15, -v16
	v_fma_f16 v6, v111, v6, v17
	s_waitcnt vmcnt(15)
	v_lshrrev_b32_e32 v16, 16, v7
	s_waitcnt vmcnt(14)
	v_mul_f16_sdwa v18, v108, v7 dst_sel:DWORD dst_unused:UNUSED_PAD src0_sel:WORD_1 src1_sel:DWORD
	v_mul_f16_sdwa v17, v108, v16 dst_sel:DWORD dst_unused:UNUSED_PAD src0_sel:WORD_1 src1_sel:DWORD
	v_fma_f16 v16, v108, v16, -v18
	v_pack_b32_f16 v15, v6, v15
	v_fma_f16 v6, v108, v7, v17
	v_pack_b32_f16 v6, v6, v16
	ds_write_b32 v113, v6 offset:1440
	s_waitcnt vmcnt(13)
	v_lshrrev_b32_e32 v18, 16, v8
	s_waitcnt vmcnt(12)
	v_mul_f16_sdwa v7, v106, v18 dst_sel:DWORD dst_unused:UNUSED_PAD src0_sel:WORD_1 src1_sel:DWORD
	v_fma_f16 v6, v106, v8, v7
	v_mul_f16_sdwa v7, v106, v8 dst_sel:DWORD dst_unused:UNUSED_PAD src0_sel:WORD_1 src1_sel:DWORD
	v_fma_f16 v7, v106, v18, -v7
	v_pack_b32_f16 v6, v6, v7
	ds_write_b32 v113, v6 offset:2880
	global_load_dword v92, v[4:5], off offset:704
	global_load_dword v89, v[4:5], off offset:2144
	;; [unrolled: 1-line block ×5, first 2 shown]
	v_add_co_u32_e32 v4, vcc, s19, v9
	v_addc_co_u32_e32 v5, vcc, 0, v10, vcc
	s_waitcnt vmcnt(16)
	v_lshrrev_b32_e32 v6, 16, v11
	global_load_dword v105, v[4:5], off offset:448
	s_waitcnt vmcnt(16)
	v_mul_f16_sdwa v7, v104, v6 dst_sel:DWORD dst_unused:UNUSED_PAD src0_sel:WORD_1 src1_sel:DWORD
	v_mul_f16_sdwa v8, v104, v11 dst_sel:DWORD dst_unused:UNUSED_PAD src0_sel:WORD_1 src1_sel:DWORD
	v_fma_f16 v7, v104, v11, v7
	v_fma_f16 v6, v104, v6, -v8
	v_pack_b32_f16 v6, v7, v6
	ds_write_b32 v113, v6 offset:4320
	s_waitcnt vmcnt(15)
	v_lshrrev_b32_e32 v6, 16, v12
	s_waitcnt vmcnt(14)
	v_mul_f16_sdwa v7, v102, v6 dst_sel:DWORD dst_unused:UNUSED_PAD src0_sel:WORD_1 src1_sel:DWORD
	v_mul_f16_sdwa v8, v102, v12 dst_sel:DWORD dst_unused:UNUSED_PAD src0_sel:WORD_1 src1_sel:DWORD
	v_fma_f16 v7, v102, v12, v7
	v_fma_f16 v6, v102, v6, -v8
	v_pack_b32_f16 v6, v7, v6
	ds_write_b32 v113, v6 offset:5760
	s_waitcnt vmcnt(13)
	v_lshrrev_b32_e32 v6, 16, v13
	s_waitcnt vmcnt(12)
	v_mul_f16_sdwa v7, v100, v6 dst_sel:DWORD dst_unused:UNUSED_PAD src0_sel:WORD_1 src1_sel:DWORD
	v_mul_f16_sdwa v8, v100, v13 dst_sel:DWORD dst_unused:UNUSED_PAD src0_sel:WORD_1 src1_sel:DWORD
	v_fma_f16 v7, v100, v13, v7
	v_fma_f16 v6, v100, v6, -v8
	v_pack_b32_f16 v6, v7, v6
	v_mov_b32_e32 v7, s14
	v_add_co_u32_e32 v2, vcc, s15, v2
	v_addc_co_u32_e32 v3, vcc, v3, v7, vcc
	global_load_dword v11, v[2:3], off
	global_load_dword v103, v[4:5], off offset:1888
	ds_write_b32 v113, v6 offset:7200
	v_mov_b32_e32 v6, s14
	v_add_co_u32_e32 v2, vcc, s15, v2
	v_addc_co_u32_e32 v3, vcc, v3, v6, vcc
	global_load_dword v12, v[2:3], off
	global_load_dword v101, v[4:5], off offset:3328
	v_add_co_u32_e32 v2, vcc, s15, v2
	v_addc_co_u32_e32 v3, vcc, v3, v6, vcc
	global_load_dword v13, v[2:3], off
	v_add_co_u32_e32 v6, vcc, s20, v9
	v_mad_u64_u32 v[2:3], s[22:23], s12, v80, v[2:3]
	v_addc_co_u32_e32 v7, vcc, 0, v10, vcc
	global_load_dword v98, v[6:7], off offset:672
	v_add_u32_e32 v3, s18, v3
	global_load_dword v16, v[2:3], off
	v_mov_b32_e32 v8, s14
	v_add_co_u32_e32 v2, vcc, s15, v2
	v_addc_co_u32_e32 v3, vcc, v3, v8, vcc
	global_load_dword v17, v[2:3], off
	v_add_co_u32_e32 v2, vcc, s15, v2
	v_addc_co_u32_e32 v3, vcc, v3, v8, vcc
	global_load_dword v18, v[2:3], off
	v_add_co_u32_e32 v2, vcc, s15, v2
	v_addc_co_u32_e32 v3, vcc, v3, v8, vcc
	v_mad_u64_u32 v[8:9], s[22:23], s12, v88, 0
	global_load_dword v19, v[2:3], off
	global_load_dword v86, v[4:5], off offset:928
	global_load_dword v84, v[4:5], off offset:2368
	;; [unrolled: 1-line block ×5, first 2 shown]
	v_mov_b32_e32 v4, v9
	v_mad_u64_u32 v[4:5], s[22:23], s13, v88, v[4:5]
	v_add_co_u32_e32 v2, vcc, s15, v2
	v_mov_b32_e32 v9, v4
	v_addc_co_u32_e32 v3, vcc, v3, v21, vcc
	v_lshlrev_b64 v[4:5], 2, v[8:9]
	global_load_dword v21, v[2:3], off
	v_add_co_u32_e32 v0, vcc, v0, v4
	v_addc_co_u32_e32 v1, vcc, v1, v5, vcc
	global_load_dword v4, v[0:1], off
	global_load_dword v90, v120, s[0:1]
	s_waitcnt vmcnt(24)
	v_lshrrev_b32_e32 v10, 16, v14
	s_waitcnt vmcnt(18)
	v_mul_f16_sdwa v20, v105, v10 dst_sel:DWORD dst_unused:UNUSED_PAD src0_sel:WORD_1 src1_sel:DWORD
	v_mul_f16_sdwa v1, v105, v14 dst_sel:DWORD dst_unused:UNUSED_PAD src0_sel:WORD_1 src1_sel:DWORD
	v_fma_f16 v0, v105, v14, v20
	v_fma_f16 v1, v105, v10, -v1
	v_pack_b32_f16 v0, v0, v1
	ds_write_b32 v113, v0 offset:8640
	v_mad_u64_u32 v[0:1], s[22:23], s12, v85, v[2:3]
	s_mulk_i32 s13, 0xb40
	v_mov_b32_e32 v10, s14
	v_add_u32_e32 v1, s13, v1
	s_waitcnt vmcnt(17)
	v_lshrrev_b32_e32 v5, 16, v11
	s_waitcnt vmcnt(16)
	v_mul_f16_sdwa v8, v103, v5 dst_sel:DWORD dst_unused:UNUSED_PAD src0_sel:WORD_1 src1_sel:DWORD
	v_mul_f16_sdwa v3, v103, v11 dst_sel:DWORD dst_unused:UNUSED_PAD src0_sel:WORD_1 src1_sel:DWORD
	v_fma_f16 v2, v103, v11, v8
	v_fma_f16 v3, v103, v5, -v3
	global_load_dword v8, v[0:1], off
	v_pack_b32_f16 v2, v2, v3
	ds_write_b32 v113, v2 offset:10080
	s_waitcnt vmcnt(16)
	v_lshrrev_b32_e32 v2, 16, v12
	s_waitcnt vmcnt(15)
	v_mul_f16_sdwa v3, v101, v2 dst_sel:DWORD dst_unused:UNUSED_PAD src0_sel:WORD_1 src1_sel:DWORD
	v_mul_f16_sdwa v5, v101, v12 dst_sel:DWORD dst_unused:UNUSED_PAD src0_sel:WORD_1 src1_sel:DWORD
	v_fma_f16 v3, v101, v12, v3
	v_fma_f16 v2, v101, v2, -v5
	v_pack_b32_f16 v2, v3, v2
	ds_write_b32 v113, v2 offset:11520
	s_waitcnt vmcnt(14)
	v_lshrrev_b32_e32 v2, 16, v13
	global_load_dword v82, v[6:7], off offset:1152
	global_load_dword v71, v[6:7], off offset:1632
	;; [unrolled: 1-line block ×3, first 2 shown]
	v_add_co_u32_e32 v0, vcc, s15, v0
	v_mov_b32_e32 v12, s14
	s_waitcnt vmcnt(16)
	v_mul_f16_sdwa v3, v98, v2 dst_sel:DWORD dst_unused:UNUSED_PAD src0_sel:WORD_1 src1_sel:DWORD
	v_mul_f16_sdwa v5, v98, v13 dst_sel:DWORD dst_unused:UNUSED_PAD src0_sel:WORD_1 src1_sel:DWORD
	v_fma_f16 v3, v98, v13, v3
	v_fma_f16 v2, v98, v2, -v5
	v_pack_b32_f16 v2, v3, v2
	ds_write_b32 v113, v2 offset:12960
	s_waitcnt vmcnt(15)
	v_lshrrev_b32_e32 v2, 16, v16
	v_mul_f16_sdwa v5, v95, v16 dst_sel:DWORD dst_unused:UNUSED_PAD src0_sel:WORD_1 src1_sel:DWORD
	v_mul_f16_sdwa v3, v95, v2 dst_sel:DWORD dst_unused:UNUSED_PAD src0_sel:WORD_1 src1_sel:DWORD
	v_fma_f16 v2, v95, v2, -v5
	v_mov_b32_e32 v5, s14
	v_addc_co_u32_e32 v1, vcc, v1, v5, vcc
	global_load_dword v5, v[0:1], off
	v_fma_f16 v3, v95, v16, v3
	v_pack_b32_f16 v2, v3, v2
	ds_write2_b32 v113, v15, v2 offset1:120
	s_waitcnt vmcnt(15)
	v_lshrrev_b32_e32 v2, 16, v17
	v_mul_f16_sdwa v3, v94, v2 dst_sel:DWORD dst_unused:UNUSED_PAD src0_sel:WORD_1 src1_sel:DWORD
	v_mul_f16_sdwa v6, v94, v17 dst_sel:DWORD dst_unused:UNUSED_PAD src0_sel:WORD_1 src1_sel:DWORD
	v_fma_f16 v3, v94, v17, v3
	v_fma_f16 v2, v94, v2, -v6
	v_pack_b32_f16 v2, v3, v2
	s_waitcnt vmcnt(14)
	v_lshrrev_b32_e32 v3, 16, v18
	v_mul_f16_sdwa v6, v91, v3 dst_sel:DWORD dst_unused:UNUSED_PAD src0_sel:WORD_1 src1_sel:DWORD
	v_mul_f16_sdwa v7, v91, v18 dst_sel:DWORD dst_unused:UNUSED_PAD src0_sel:WORD_1 src1_sel:DWORD
	v_fma_f16 v6, v91, v18, v6
	v_fma_f16 v3, v91, v3, -v7
	v_pack_b32_f16 v3, v6, v3
	s_waitcnt vmcnt(13)
	v_lshrrev_b32_e32 v6, 16, v19
	v_add_co_u32_e32 v0, vcc, s15, v0
	v_mul_f16_sdwa v7, v92, v6 dst_sel:DWORD dst_unused:UNUSED_PAD src0_sel:WORD_1 src1_sel:DWORD
	v_mul_f16_sdwa v9, v92, v19 dst_sel:DWORD dst_unused:UNUSED_PAD src0_sel:WORD_1 src1_sel:DWORD
	v_addc_co_u32_e32 v1, vcc, v1, v10, vcc
	v_fma_f16 v7, v92, v19, v7
	global_load_dword v10, v[0:1], off
	v_fma_f16 v6, v92, v6, -v9
	v_add_co_u32_e32 v0, vcc, s15, v0
	v_pack_b32_f16 v6, v7, v6
	s_waitcnt vmcnt(8)
	v_lshrrev_b32_e32 v7, 16, v21
	v_addc_co_u32_e32 v1, vcc, v1, v12, vcc
	v_mul_f16_sdwa v9, v89, v7 dst_sel:DWORD dst_unused:UNUSED_PAD src0_sel:WORD_1 src1_sel:DWORD
	v_mul_f16_sdwa v11, v89, v21 dst_sel:DWORD dst_unused:UNUSED_PAD src0_sel:WORD_1 src1_sel:DWORD
	global_load_dword v12, v[0:1], off
	v_mad_u64_u32 v[0:1], s[12:13], s12, v80, v[0:1]
	v_fma_f16 v9, v89, v21, v9
	v_fma_f16 v7, v89, v7, -v11
	v_pack_b32_f16 v7, v9, v7
	s_waitcnt vmcnt(8)
	v_lshrrev_b32_e32 v9, 16, v4
	s_waitcnt vmcnt(7)
	v_mul_f16_sdwa v11, v90, v9 dst_sel:DWORD dst_unused:UNUSED_PAD src0_sel:WORD_1 src1_sel:DWORD
	v_fma_f16 v11, v90, v4, v11
	v_mul_f16_sdwa v4, v90, v4 dst_sel:DWORD dst_unused:UNUSED_PAD src0_sel:WORD_1 src1_sel:DWORD
	v_add_u32_e32 v1, s18, v1
	v_fma_f16 v4, v90, v9, -v4
	global_load_dword v9, v[0:1], off
	v_mov_b32_e32 v13, s14
	v_add_co_u32_e32 v0, vcc, s15, v0
	v_addc_co_u32_e32 v1, vcc, v1, v13, vcc
	global_load_dword v13, v[0:1], off
	v_mov_b32_e32 v15, s14
	v_add_co_u32_e32 v0, vcc, s15, v0
	v_addc_co_u32_e32 v1, vcc, v1, v15, vcc
	global_load_dword v15, v[0:1], off
	global_load_dword v81, v113, s[0:1] offset:3840
	v_mov_b32_e32 v16, s14
	v_add_co_u32_e32 v0, vcc, s15, v0
	v_pack_b32_f16 v4, v11, v4
	s_waitcnt vmcnt(10)
	v_lshrrev_b32_e32 v11, 16, v8
	v_addc_co_u32_e32 v1, vcc, v1, v16, vcc
	v_mul_f16_sdwa v14, v86, v11 dst_sel:DWORD dst_unused:UNUSED_PAD src0_sel:WORD_1 src1_sel:DWORD
	global_load_dword v16, v[0:1], off
	v_fma_f16 v14, v86, v8, v14
	v_mul_f16_sdwa v8, v86, v8 dst_sel:DWORD dst_unused:UNUSED_PAD src0_sel:WORD_1 src1_sel:DWORD
	v_fma_f16 v8, v86, v11, -v8
	v_mov_b32_e32 v11, s14
	v_add_co_u32_e32 v0, vcc, s15, v0
	v_addc_co_u32_e32 v1, vcc, v1, v11, vcc
	global_load_dword v11, v[0:1], off
	v_mov_b32_e32 v18, s14
	v_add_co_u32_e32 v0, vcc, s15, v0
	v_addc_co_u32_e32 v1, vcc, v1, v18, vcc
	global_load_dword v18, v[0:1], off
	v_mov_b32_e32 v19, s14
	v_add_co_u32_e32 v0, vcc, s15, v0
	v_pack_b32_f16 v8, v14, v8
	s_waitcnt vmcnt(9)
	v_lshrrev_b32_e32 v14, 16, v5
	v_addc_co_u32_e32 v1, vcc, v1, v19, vcc
	v_mul_f16_sdwa v17, v84, v14 dst_sel:DWORD dst_unused:UNUSED_PAD src0_sel:WORD_1 src1_sel:DWORD
	global_load_dword v19, v[0:1], off
	v_fma_f16 v17, v84, v5, v17
	v_mul_f16_sdwa v5, v84, v5 dst_sel:DWORD dst_unused:UNUSED_PAD src0_sel:WORD_1 src1_sel:DWORD
	v_fma_f16 v5, v84, v14, -v5
	v_mov_b32_e32 v14, s14
	v_add_co_u32_e32 v0, vcc, s15, v0
	v_addc_co_u32_e32 v1, vcc, v1, v14, vcc
	global_load_dword v14, v[0:1], off
	v_mov_b32_e32 v21, s14
	v_add_co_u32_e32 v0, vcc, s15, v0
	v_addc_co_u32_e32 v1, vcc, v1, v21, vcc
	global_load_dword v21, v[0:1], off
	v_add_co_u32_e32 v0, vcc, s15, v0
	v_addc_co_u32_e32 v1, vcc, v1, v22, vcc
	global_load_dword v0, v[0:1], off
	v_pack_b32_f16 v5, v17, v5
	s_waitcnt vmcnt(12)
	v_lshrrev_b32_e32 v17, 16, v10
	v_mul_f16_sdwa v20, v83, v17 dst_sel:DWORD dst_unused:UNUSED_PAD src0_sel:WORD_1 src1_sel:DWORD
	v_fma_f16 v20, v83, v10, v20
	v_mul_f16_sdwa v10, v83, v10 dst_sel:DWORD dst_unused:UNUSED_PAD src0_sel:WORD_1 src1_sel:DWORD
	v_fma_f16 v1, v83, v17, -v10
	s_waitcnt vmcnt(11)
	v_lshrrev_b32_e32 v10, 16, v12
	v_mul_f16_sdwa v17, v82, v10 dst_sel:DWORD dst_unused:UNUSED_PAD src0_sel:WORD_1 src1_sel:DWORD
	v_fma_f16 v17, v82, v12, v17
	v_mul_f16_sdwa v12, v82, v12 dst_sel:DWORD dst_unused:UNUSED_PAD src0_sel:WORD_1 src1_sel:DWORD
	v_fma_f16 v10, v82, v10, -v12
	v_pack_b32_f16 v10, v17, v10
	v_pack_b32_f16 v1, v20, v1
	s_movk_i32 s1, 0x3b9c
	s_waitcnt vmcnt(10)
	v_lshrrev_b32_e32 v12, 16, v9
	v_mul_f16_sdwa v17, v79, v12 dst_sel:DWORD dst_unused:UNUSED_PAD src0_sel:WORD_1 src1_sel:DWORD
	v_fma_f16 v17, v79, v9, v17
	v_mul_f16_sdwa v9, v79, v9 dst_sel:DWORD dst_unused:UNUSED_PAD src0_sel:WORD_1 src1_sel:DWORD
	v_fma_f16 v9, v79, v12, -v9
	v_pack_b32_f16 v9, v17, v9
	ds_write_b32 v113, v9 offset:960
	s_waitcnt vmcnt(9)
	v_lshrrev_b32_e32 v9, 16, v13
	v_mul_f16_sdwa v12, v78, v9 dst_sel:DWORD dst_unused:UNUSED_PAD src0_sel:WORD_1 src1_sel:DWORD
	v_fma_f16 v12, v78, v13, v12
	v_mul_f16_sdwa v13, v78, v13 dst_sel:DWORD dst_unused:UNUSED_PAD src0_sel:WORD_1 src1_sel:DWORD
	v_fma_f16 v9, v78, v9, -v13
	v_pack_b32_f16 v9, v12, v9
	ds_write2_b32 v99, v2, v9 offset0:96 offset1:216
	s_waitcnt vmcnt(8)
	v_lshrrev_b32_e32 v2, 16, v15
	s_waitcnt vmcnt(7)
	v_mul_f16_sdwa v9, v81, v2 dst_sel:DWORD dst_unused:UNUSED_PAD src0_sel:WORD_1 src1_sel:DWORD
	v_mul_f16_sdwa v12, v81, v15 dst_sel:DWORD dst_unused:UNUSED_PAD src0_sel:WORD_1 src1_sel:DWORD
	v_fma_f16 v9, v81, v15, v9
	v_fma_f16 v2, v81, v2, -v12
	v_pack_b32_f16 v2, v9, v2
	ds_write2_b32 v122, v3, v2 offset0:72 offset1:192
	s_waitcnt vmcnt(6)
	v_lshrrev_b32_e32 v2, 16, v16
	v_mul_f16_sdwa v3, v77, v2 dst_sel:DWORD dst_unused:UNUSED_PAD src0_sel:WORD_1 src1_sel:DWORD
	v_mul_f16_sdwa v9, v77, v16 dst_sel:DWORD dst_unused:UNUSED_PAD src0_sel:WORD_1 src1_sel:DWORD
	v_fma_f16 v3, v77, v16, v3
	v_fma_f16 v2, v77, v2, -v9
	v_pack_b32_f16 v2, v3, v2
	ds_write2_b32 v97, v6, v2 offset0:48 offset1:168
	s_mov_b32 s13, 0xbb9c
	s_movk_i32 s0, 0x38b4
	s_waitcnt vmcnt(5)
	v_lshrrev_b32_e32 v2, 16, v11
	v_mul_f16_sdwa v3, v76, v2 dst_sel:DWORD dst_unused:UNUSED_PAD src0_sel:WORD_1 src1_sel:DWORD
	v_mul_f16_sdwa v6, v76, v11 dst_sel:DWORD dst_unused:UNUSED_PAD src0_sel:WORD_1 src1_sel:DWORD
	v_fma_f16 v3, v76, v11, v3
	v_fma_f16 v2, v76, v2, -v6
	v_pack_b32_f16 v2, v3, v2
	ds_write2_b32 v123, v7, v2 offset0:24 offset1:144
	s_waitcnt vmcnt(4)
	v_lshrrev_b32_e32 v2, 16, v18
	v_mul_f16_sdwa v3, v75, v2 dst_sel:DWORD dst_unused:UNUSED_PAD src0_sel:WORD_1 src1_sel:DWORD
	v_mul_f16_sdwa v6, v75, v18 dst_sel:DWORD dst_unused:UNUSED_PAD src0_sel:WORD_1 src1_sel:DWORD
	v_fma_f16 v3, v75, v18, v3
	v_fma_f16 v2, v75, v2, -v6
	v_pack_b32_f16 v2, v3, v2
	ds_write2_b32 v96, v4, v2 offset0:128 offset1:248
	s_mov_b32 s14, 0xb8b4
	s_waitcnt vmcnt(3)
	v_lshrrev_b32_e32 v2, 16, v19
	v_mul_f16_sdwa v3, v74, v2 dst_sel:DWORD dst_unused:UNUSED_PAD src0_sel:WORD_1 src1_sel:DWORD
	v_mul_f16_sdwa v4, v74, v19 dst_sel:DWORD dst_unused:UNUSED_PAD src0_sel:WORD_1 src1_sel:DWORD
	v_fma_f16 v3, v74, v19, v3
	v_fma_f16 v2, v74, v2, -v4
	v_pack_b32_f16 v2, v3, v2
	ds_write2_b32 v124, v8, v2 offset0:104 offset1:224
	s_movk_i32 s12, 0x34f2
	s_movk_i32 s15, 0x3a79
	s_waitcnt vmcnt(2)
	v_lshrrev_b32_e32 v2, 16, v14
	v_mul_f16_sdwa v3, v73, v2 dst_sel:DWORD dst_unused:UNUSED_PAD src0_sel:WORD_1 src1_sel:DWORD
	v_mul_f16_sdwa v4, v73, v14 dst_sel:DWORD dst_unused:UNUSED_PAD src0_sel:WORD_1 src1_sel:DWORD
	v_fma_f16 v3, v73, v14, v3
	v_fma_f16 v2, v73, v2, -v4
	v_pack_b32_f16 v2, v3, v2
	ds_write2_b32 v93, v5, v2 offset0:80 offset1:200
	s_waitcnt vmcnt(1)
	v_lshrrev_b32_e32 v2, 16, v21
	v_mul_f16_sdwa v3, v72, v2 dst_sel:DWORD dst_unused:UNUSED_PAD src0_sel:WORD_1 src1_sel:DWORD
	v_mul_f16_sdwa v4, v72, v21 dst_sel:DWORD dst_unused:UNUSED_PAD src0_sel:WORD_1 src1_sel:DWORD
	v_fma_f16 v3, v72, v21, v3
	v_fma_f16 v2, v72, v2, -v4
	v_pack_b32_f16 v2, v3, v2
	ds_write2_b32 v121, v1, v2 offset0:56 offset1:176
	s_waitcnt vmcnt(0)
	v_lshrrev_b32_e32 v1, 16, v0
	v_mul_f16_sdwa v2, v71, v1 dst_sel:DWORD dst_unused:UNUSED_PAD src0_sel:WORD_1 src1_sel:DWORD
	v_fma_f16 v2, v71, v0, v2
	v_mul_f16_sdwa v0, v71, v0 dst_sel:DWORD dst_unused:UNUSED_PAD src0_sel:WORD_1 src1_sel:DWORD
	v_fma_f16 v0, v71, v1, -v0
	v_pack_b32_f16 v0, v2, v0
	ds_write2_b32 v87, v10, v0 offset0:32 offset1:152
	s_waitcnt lgkmcnt(0)
	s_barrier
	ds_read2_b32 v[32:33], v116 offset0:32 offset1:152
	ds_read2_b32 v[34:35], v114 offset0:112 offset1:232
	ds_read2_b32 v[28:29], v113 offset1:120
	ds_read2_b32 v[18:19], v119 offset0:112 offset1:232
	ds_read2_b32 v[30:31], v118 offset0:80 offset1:200
	;; [unrolled: 1-line block ×7, first 2 shown]
	s_waitcnt lgkmcnt(8)
	v_add_f16_e32 v23, v32, v34
	s_waitcnt lgkmcnt(7)
	v_fma_f16 v23, v23, -0.5, v28
	v_sub_f16_sdwa v26, v32, v34 dst_sel:DWORD dst_unused:UNUSED_PAD src0_sel:WORD_1 src1_sel:WORD_1
	s_waitcnt lgkmcnt(5)
	v_sub_f16_e32 v27, v30, v32
	s_waitcnt lgkmcnt(0)
	v_sub_f16_sdwa v24, v30, v36 dst_sel:DWORD dst_unused:UNUSED_PAD src0_sel:WORD_1 src1_sel:WORD_1
	v_fma_f16 v25, v24, s1, v23
	v_sub_f16_e32 v40, v36, v34
	v_fma_f16 v23, v24, s13, v23
	v_fma_f16 v25, v26, s0, v25
	v_add_f16_e32 v27, v27, v40
	v_fma_f16 v23, v26, s14, v23
	v_fma_f16 v25, v27, s12, v25
	;; [unrolled: 1-line block ×3, first 2 shown]
	v_add_f16_e32 v27, v30, v36
	v_fma_f16 v27, v27, -0.5, v28
	v_lshrrev_b32_e32 v20, 16, v28
	v_add_f16_e32 v22, v28, v30
	v_fma_f16 v28, v26, s13, v27
	v_sub_f16_e32 v40, v32, v30
	v_sub_f16_e32 v42, v34, v36
	v_fma_f16 v26, v26, s1, v27
	v_fma_f16 v28, v24, s0, v28
	v_add_f16_e32 v40, v40, v42
	v_fma_f16 v24, v24, s14, v26
	v_fma_f16 v26, v40, s12, v24
	v_add_f16_sdwa v24, v20, v30 dst_sel:DWORD dst_unused:UNUSED_PAD src0_sel:DWORD src1_sel:WORD_1
	v_add_f16_sdwa v24, v24, v32 dst_sel:DWORD dst_unused:UNUSED_PAD src0_sel:DWORD src1_sel:WORD_1
	v_add_f16_sdwa v24, v24, v34 dst_sel:DWORD dst_unused:UNUSED_PAD src0_sel:DWORD src1_sel:WORD_1
	v_add_f16_sdwa v27, v24, v36 dst_sel:DWORD dst_unused:UNUSED_PAD src0_sel:DWORD src1_sel:WORD_1
	v_add_f16_sdwa v24, v32, v34 dst_sel:DWORD dst_unused:UNUSED_PAD src0_sel:WORD_1 src1_sel:WORD_1
	v_fma_f16 v28, v40, s12, v28
	v_fma_f16 v24, v24, -0.5, v20
	v_sub_f16_e32 v40, v30, v36
	v_fma_f16 v42, v40, s13, v24
	v_sub_f16_e32 v43, v32, v34
	v_sub_f16_sdwa v44, v30, v32 dst_sel:DWORD dst_unused:UNUSED_PAD src0_sel:WORD_1 src1_sel:WORD_1
	v_sub_f16_sdwa v45, v36, v34 dst_sel:DWORD dst_unused:UNUSED_PAD src0_sel:WORD_1 src1_sel:WORD_1
	v_fma_f16 v24, v40, s1, v24
	v_fma_f16 v42, v43, s14, v42
	v_add_f16_e32 v44, v44, v45
	v_fma_f16 v24, v43, s0, v24
	v_fma_f16 v42, v44, s12, v42
	v_fma_f16 v44, v44, s12, v24
	v_add_f16_sdwa v24, v30, v36 dst_sel:DWORD dst_unused:UNUSED_PAD src0_sel:WORD_1 src1_sel:WORD_1
	v_fma_f16 v20, v24, -0.5, v20
	ds_read2_b32 v[14:15], v107 offset0:48 offset1:168
	v_add_f16_e32 v22, v22, v32
	v_fma_f16 v24, v43, s1, v20
	v_sub_f16_sdwa v30, v32, v30 dst_sel:DWORD dst_unused:UNUSED_PAD src0_sel:WORD_1 src1_sel:WORD_1
	v_sub_f16_sdwa v32, v34, v36 dst_sel:DWORD dst_unused:UNUSED_PAD src0_sel:WORD_1 src1_sel:WORD_1
	v_fma_f16 v20, v43, s13, v20
	v_fma_f16 v24, v40, s14, v24
	v_add_f16_e32 v30, v30, v32
	v_fma_f16 v20, v40, s0, v20
	v_fma_f16 v32, v30, s12, v24
	;; [unrolled: 1-line block ×3, first 2 shown]
	v_add_f16_e32 v20, v19, v13
	v_add_f16_e32 v20, v20, v17
	;; [unrolled: 1-line block ×3, first 2 shown]
	s_waitcnt lgkmcnt(0)
	v_add_f16_e32 v24, v20, v15
	v_add_f16_e32 v20, v17, v11
	;; [unrolled: 1-line block ×3, first 2 shown]
	v_fma_f16 v20, v20, -0.5, v19
	v_sub_f16_sdwa v34, v13, v15 dst_sel:DWORD dst_unused:UNUSED_PAD src0_sel:WORD_1 src1_sel:WORD_1
	v_add_f16_e32 v22, v22, v36
	v_fma_f16 v36, v34, s1, v20
	v_sub_f16_sdwa v40, v17, v11 dst_sel:DWORD dst_unused:UNUSED_PAD src0_sel:WORD_1 src1_sel:WORD_1
	v_sub_f16_e32 v43, v13, v17
	v_sub_f16_e32 v45, v15, v11
	v_fma_f16 v20, v34, s13, v20
	v_fma_f16 v36, v40, s0, v36
	v_add_f16_e32 v43, v43, v45
	v_fma_f16 v20, v40, s14, v20
	v_fma_f16 v36, v43, s12, v36
	;; [unrolled: 1-line block ×3, first 2 shown]
	v_add_f16_e32 v43, v13, v15
	v_lshrrev_b32_e32 v21, 16, v19
	v_fma_f16 v19, v43, -0.5, v19
	v_fma_f16 v43, v40, s13, v19
	v_sub_f16_e32 v45, v17, v13
	v_sub_f16_e32 v46, v11, v15
	v_fma_f16 v19, v40, s1, v19
	v_fma_f16 v43, v34, s0, v43
	v_add_f16_e32 v45, v45, v46
	v_fma_f16 v19, v34, s14, v19
	v_add_f16_sdwa v40, v17, v11 dst_sel:DWORD dst_unused:UNUSED_PAD src0_sel:WORD_1 src1_sel:WORD_1
	v_fma_f16 v43, v45, s12, v43
	v_fma_f16 v19, v45, s12, v19
	v_fma_f16 v40, v40, -0.5, v21
	v_sub_f16_e32 v45, v13, v15
	v_fma_f16 v46, v45, s13, v40
	v_sub_f16_e32 v47, v17, v11
	v_sub_f16_sdwa v48, v13, v17 dst_sel:DWORD dst_unused:UNUSED_PAD src0_sel:WORD_1 src1_sel:WORD_1
	v_sub_f16_sdwa v49, v15, v11 dst_sel:DWORD dst_unused:UNUSED_PAD src0_sel:WORD_1 src1_sel:WORD_1
	v_add_f16_sdwa v34, v21, v13 dst_sel:DWORD dst_unused:UNUSED_PAD src0_sel:DWORD src1_sel:WORD_1
	v_fma_f16 v46, v47, s14, v46
	v_add_f16_e32 v48, v48, v49
	v_add_f16_sdwa v34, v34, v17 dst_sel:DWORD dst_unused:UNUSED_PAD src0_sel:DWORD src1_sel:WORD_1
	v_fma_f16 v49, v48, s12, v46
	v_add_f16_sdwa v46, v13, v15 dst_sel:DWORD dst_unused:UNUSED_PAD src0_sel:WORD_1 src1_sel:WORD_1
	v_add_f16_sdwa v34, v34, v11 dst_sel:DWORD dst_unused:UNUSED_PAD src0_sel:DWORD src1_sel:WORD_1
	v_fma_f16 v21, v46, -0.5, v21
	v_sub_f16_sdwa v13, v17, v13 dst_sel:DWORD dst_unused:UNUSED_PAD src0_sel:WORD_1 src1_sel:WORD_1
	v_sub_f16_sdwa v11, v11, v15 dst_sel:DWORD dst_unused:UNUSED_PAD src0_sel:WORD_1 src1_sel:WORD_1
	v_fma_f16 v46, v47, s1, v21
	v_add_f16_e32 v11, v13, v11
	v_fma_f16 v13, v47, s13, v21
	v_fma_f16 v46, v45, s14, v46
	;; [unrolled: 1-line block ×5, first 2 shown]
	v_mul_f16_e32 v13, 0x3a79, v36
	v_fma_f16 v40, v45, s1, v40
	v_fma_f16 v45, v49, s0, v13
	v_mul_f16_e32 v13, 0x3b9c, v17
	v_fma_f16 v40, v47, s0, v40
	v_fma_f16 v52, v43, s12, v13
	v_mul_f16_e32 v43, 0xbb9c, v43
	v_fma_f16 v40, v48, s12, v40
	v_mul_f16_e32 v13, 0xb4f2, v19
	;; [unrolled: 2-line block ×3, first 2 shown]
	v_add_f16_sdwa v34, v34, v15 dst_sel:DWORD dst_unused:UNUSED_PAD src0_sel:DWORD src1_sel:WORD_1
	v_add_f16_e32 v11, v22, v24
	v_add_f16_e32 v50, v25, v45
	;; [unrolled: 1-line block ×3, first 2 shown]
	v_fma_f16 v53, v21, s1, v13
	v_mul_f16_e32 v13, 0xba79, v20
	v_mul_f16_e32 v36, 0xb8b4, v36
	v_add_f16_e32 v48, v32, v43
	v_fma_f16 v55, v19, s13, v17
	v_mul_f16_e32 v17, 0xba79, v40
	v_sub_f16_e32 v21, v22, v24
	v_sub_f16_e32 v24, v25, v45
	v_sub_f16_e32 v25, v28, v52
	v_sub_f16_e32 v28, v32, v43
	v_add_f16_e32 v32, v33, v35
	v_add_f16_e32 v47, v26, v53
	v_fma_f16 v54, v40, s0, v13
	v_add_f16_e32 v15, v27, v34
	v_fma_f16 v36, v49, s15, v36
	v_fma_f16 v40, v20, s14, v17
	v_sub_f16_e32 v17, v26, v53
	v_sub_f16_e32 v26, v27, v34
	v_fma_f16 v32, v32, -0.5, v29
	v_sub_f16_sdwa v34, v31, v37 dst_sel:DWORD dst_unused:UNUSED_PAD src0_sel:WORD_1 src1_sel:WORD_1
	v_add_f16_e32 v13, v23, v54
	v_add_f16_e32 v51, v42, v36
	;; [unrolled: 1-line block ×3, first 2 shown]
	v_sub_f16_e32 v19, v23, v54
	v_sub_f16_e32 v27, v42, v36
	;; [unrolled: 1-line block ×3, first 2 shown]
	v_fma_f16 v36, v34, s1, v32
	v_sub_f16_sdwa v40, v33, v35 dst_sel:DWORD dst_unused:UNUSED_PAD src0_sel:WORD_1 src1_sel:WORD_1
	v_sub_f16_e32 v42, v31, v33
	v_sub_f16_e32 v43, v37, v35
	v_fma_f16 v32, v34, s13, v32
	v_fma_f16 v36, v40, s0, v36
	v_add_f16_e32 v42, v42, v43
	v_fma_f16 v32, v40, s14, v32
	v_fma_f16 v36, v42, s12, v36
	;; [unrolled: 1-line block ×3, first 2 shown]
	v_add_f16_e32 v42, v31, v37
	v_lshrrev_b32_e32 v38, 16, v29
	v_add_f16_e32 v49, v30, v55
	v_sub_f16_e32 v22, v30, v55
	v_add_f16_e32 v30, v29, v31
	v_fma_f16 v29, v42, -0.5, v29
	v_fma_f16 v42, v40, s13, v29
	v_fma_f16 v29, v40, s1, v29
	;; [unrolled: 1-line block ×4, first 2 shown]
	v_add_f16_sdwa v34, v38, v31 dst_sel:DWORD dst_unused:UNUSED_PAD src0_sel:DWORD src1_sel:WORD_1
	v_sub_f16_e32 v43, v33, v31
	v_sub_f16_e32 v44, v35, v37
	v_add_f16_sdwa v34, v34, v33 dst_sel:DWORD dst_unused:UNUSED_PAD src0_sel:DWORD src1_sel:WORD_1
	v_add_f16_e32 v43, v43, v44
	v_add_f16_sdwa v34, v34, v35 dst_sel:DWORD dst_unused:UNUSED_PAD src0_sel:DWORD src1_sel:WORD_1
	v_fma_f16 v42, v43, s12, v42
	v_fma_f16 v29, v43, s12, v29
	v_add_f16_sdwa v43, v34, v37 dst_sel:DWORD dst_unused:UNUSED_PAD src0_sel:DWORD src1_sel:WORD_1
	v_add_f16_sdwa v34, v33, v35 dst_sel:DWORD dst_unused:UNUSED_PAD src0_sel:WORD_1 src1_sel:WORD_1
	v_fma_f16 v34, v34, -0.5, v38
	v_sub_f16_e32 v40, v31, v37
	v_fma_f16 v44, v40, s13, v34
	v_sub_f16_e32 v45, v33, v35
	v_sub_f16_sdwa v52, v31, v33 dst_sel:DWORD dst_unused:UNUSED_PAD src0_sel:WORD_1 src1_sel:WORD_1
	v_sub_f16_sdwa v53, v37, v35 dst_sel:DWORD dst_unused:UNUSED_PAD src0_sel:WORD_1 src1_sel:WORD_1
	v_fma_f16 v34, v40, s1, v34
	v_fma_f16 v44, v45, s14, v44
	v_add_f16_e32 v52, v52, v53
	v_fma_f16 v34, v45, s0, v34
	ds_read2_b32 v[4:5], v97 offset0:48 offset1:168
	ds_read2_b32 v[6:7], v96 offset0:128 offset1:248
	;; [unrolled: 1-line block ×4, first 2 shown]
	v_fma_f16 v44, v52, s12, v44
	v_fma_f16 v52, v52, s12, v34
	v_add_f16_sdwa v34, v31, v37 dst_sel:DWORD dst_unused:UNUSED_PAD src0_sel:WORD_1 src1_sel:WORD_1
	v_add_f16_e32 v30, v30, v33
	v_fma_f16 v34, v34, -0.5, v38
	v_sub_f16_sdwa v31, v33, v31 dst_sel:DWORD dst_unused:UNUSED_PAD src0_sel:WORD_1 src1_sel:WORD_1
	v_sub_f16_sdwa v33, v35, v37 dst_sel:DWORD dst_unused:UNUSED_PAD src0_sel:WORD_1 src1_sel:WORD_1
	v_add_f16_e32 v31, v31, v33
	v_fma_f16 v33, v45, s13, v34
	v_fma_f16 v33, v40, s0, v33
	;; [unrolled: 1-line block ×4, first 2 shown]
	s_waitcnt lgkmcnt(1)
	v_add_f16_e32 v33, v6, v0
	v_add_f16_e32 v30, v30, v35
	v_fma_f16 v38, v40, s14, v38
	v_fma_f16 v33, v33, -0.5, v8
	s_waitcnt lgkmcnt(0)
	v_sub_f16_sdwa v34, v4, v2 dst_sel:DWORD dst_unused:UNUSED_PAD src0_sel:WORD_1 src1_sel:WORD_1
	v_add_f16_e32 v30, v30, v37
	v_fma_f16 v37, v31, s12, v38
	v_fma_f16 v35, v34, s1, v33
	v_sub_f16_sdwa v38, v6, v0 dst_sel:DWORD dst_unused:UNUSED_PAD src0_sel:WORD_1 src1_sel:WORD_1
	v_sub_f16_e32 v40, v4, v6
	v_sub_f16_e32 v45, v2, v0
	v_fma_f16 v33, v34, s13, v33
	v_fma_f16 v35, v38, s0, v35
	v_add_f16_e32 v40, v40, v45
	v_fma_f16 v33, v38, s14, v33
	v_fma_f16 v35, v40, s12, v35
	;; [unrolled: 1-line block ×3, first 2 shown]
	v_add_f16_e32 v33, v4, v2
	v_lshrrev_b32_e32 v39, 16, v8
	v_add_f16_e32 v31, v8, v4
	v_fma_f16 v8, v33, -0.5, v8
	v_fma_f16 v33, v38, s13, v8
	v_sub_f16_e32 v45, v6, v4
	v_sub_f16_e32 v54, v0, v2
	v_fma_f16 v8, v38, s1, v8
	v_add_f16_e32 v45, v45, v54
	v_fma_f16 v8, v34, s14, v8
	v_fma_f16 v33, v34, s0, v33
	v_fma_f16 v34, v45, s12, v8
	v_add_f16_sdwa v8, v39, v4 dst_sel:DWORD dst_unused:UNUSED_PAD src0_sel:DWORD src1_sel:WORD_1
	v_add_f16_sdwa v8, v8, v6 dst_sel:DWORD dst_unused:UNUSED_PAD src0_sel:DWORD src1_sel:WORD_1
	;; [unrolled: 1-line block ×4, first 2 shown]
	v_add_f16_sdwa v8, v6, v0 dst_sel:DWORD dst_unused:UNUSED_PAD src0_sel:WORD_1 src1_sel:WORD_1
	v_fma_f16 v33, v45, s12, v33
	v_fma_f16 v8, v8, -0.5, v39
	v_sub_f16_e32 v45, v4, v2
	v_fma_f16 v54, v45, s13, v8
	v_sub_f16_e32 v55, v6, v0
	v_sub_f16_sdwa v56, v4, v6 dst_sel:DWORD dst_unused:UNUSED_PAD src0_sel:WORD_1 src1_sel:WORD_1
	v_sub_f16_sdwa v57, v2, v0 dst_sel:DWORD dst_unused:UNUSED_PAD src0_sel:WORD_1 src1_sel:WORD_1
	v_fma_f16 v8, v45, s1, v8
	v_fma_f16 v54, v55, s14, v54
	v_add_f16_e32 v56, v56, v57
	v_fma_f16 v8, v55, s0, v8
	v_fma_f16 v54, v56, s12, v54
	;; [unrolled: 1-line block ×3, first 2 shown]
	v_add_f16_sdwa v8, v4, v2 dst_sel:DWORD dst_unused:UNUSED_PAD src0_sel:WORD_1 src1_sel:WORD_1
	v_add_f16_e32 v31, v31, v6
	v_fma_f16 v8, v8, -0.5, v39
	v_add_f16_e32 v31, v31, v0
	v_fma_f16 v39, v55, s1, v8
	v_sub_f16_sdwa v4, v6, v4 dst_sel:DWORD dst_unused:UNUSED_PAD src0_sel:WORD_1 src1_sel:WORD_1
	v_sub_f16_sdwa v0, v0, v2 dst_sel:DWORD dst_unused:UNUSED_PAD src0_sel:WORD_1 src1_sel:WORD_1
	v_fma_f16 v39, v45, s14, v39
	v_add_f16_e32 v0, v4, v0
	v_add_f16_e32 v31, v31, v2
	v_fma_f16 v6, v0, s12, v39
	v_fma_f16 v2, v55, s13, v8
	;; [unrolled: 1-line block ×3, first 2 shown]
	v_mul_f16_e32 v4, 0x3b9c, v6
	v_fma_f16 v39, v0, s12, v2
	v_fma_f16 v55, v33, s12, v4
	v_mul_f16_e32 v33, 0xbb9c, v33
	v_mul_f16_e32 v2, 0x3a79, v35
	;; [unrolled: 1-line block ×3, first 2 shown]
	v_fma_f16 v59, v6, s12, v33
	v_mul_f16_e32 v33, 0xb4f2, v39
	v_fma_f16 v45, v54, s0, v2
	v_mul_f16_e32 v8, 0xb4f2, v34
	;; [unrolled: 2-line block ×4, first 2 shown]
	v_fma_f16 v58, v56, s0, v35
	v_fma_f16 v56, v40, s14, v34
	;; [unrolled: 1-line block ×3, first 2 shown]
	v_add_f16_e32 v33, v43, v38
	v_add_f16_e32 v39, v44, v54
	;; [unrolled: 1-line block ×4, first 2 shown]
	v_sub_f16_e32 v38, v43, v38
	v_sub_f16_e32 v43, v44, v54
	;; [unrolled: 1-line block ×4, first 2 shown]
	v_add_f16_e32 v52, v16, v10
	v_add_f16_e32 v0, v30, v31
	;; [unrolled: 1-line block ×4, first 2 shown]
	v_sub_f16_e32 v30, v30, v31
	v_sub_f16_e32 v34, v36, v45
	v_add_f16_e32 v45, v53, v60
	v_sub_f16_e32 v31, v32, v58
	v_sub_f16_e32 v32, v53, v60
	v_fma_f16 v52, v52, -0.5, v18
	v_sub_f16_sdwa v53, v12, v14 dst_sel:DWORD dst_unused:UNUSED_PAD src0_sel:WORD_1 src1_sel:WORD_1
	v_add_f16_e32 v4, v42, v55
	v_add_f16_e32 v8, v29, v57
	v_sub_f16_e32 v36, v42, v55
	v_sub_f16_e32 v29, v29, v57
	v_fma_f16 v54, v53, s1, v52
	v_sub_f16_sdwa v55, v16, v10 dst_sel:DWORD dst_unused:UNUSED_PAD src0_sel:WORD_1 src1_sel:WORD_1
	v_sub_f16_e32 v56, v12, v16
	v_sub_f16_e32 v57, v14, v10
	v_fma_f16 v52, v53, s13, v52
	v_fma_f16 v54, v55, s0, v54
	v_add_f16_e32 v56, v56, v57
	v_fma_f16 v52, v55, s14, v52
	v_fma_f16 v54, v56, s12, v54
	;; [unrolled: 1-line block ×3, first 2 shown]
	v_add_f16_e32 v56, v12, v14
	v_lshrrev_b32_e32 v41, 16, v18
	v_add_f16_e32 v42, v18, v12
	v_fma_f16 v18, v56, -0.5, v18
	v_fma_f16 v56, v55, s13, v18
	v_sub_f16_e32 v57, v16, v12
	v_sub_f16_e32 v58, v10, v14
	v_fma_f16 v18, v55, s1, v18
	v_fma_f16 v56, v53, s0, v56
	v_add_f16_e32 v57, v57, v58
	v_fma_f16 v18, v53, s14, v18
	v_add_f16_sdwa v53, v16, v10 dst_sel:DWORD dst_unused:UNUSED_PAD src0_sel:WORD_1 src1_sel:WORD_1
	v_fma_f16 v56, v57, s12, v56
	v_fma_f16 v18, v57, s12, v18
	v_fma_f16 v53, v53, -0.5, v41
	v_sub_f16_e32 v55, v12, v14
	v_sub_f16_sdwa v57, v12, v16 dst_sel:DWORD dst_unused:UNUSED_PAD src0_sel:WORD_1 src1_sel:WORD_1
	v_sub_f16_sdwa v58, v14, v10 dst_sel:DWORD dst_unused:UNUSED_PAD src0_sel:WORD_1 src1_sel:WORD_1
	v_add_f16_e32 v57, v57, v58
	v_fma_f16 v58, v55, s13, v53
	v_sub_f16_e32 v59, v16, v10
	v_fma_f16 v53, v55, s1, v53
	v_fma_f16 v58, v59, s14, v58
	v_fma_f16 v53, v59, s0, v53
	v_fma_f16 v58, v57, s12, v58
	v_fma_f16 v53, v57, s12, v53
	v_add_f16_sdwa v57, v41, v12 dst_sel:DWORD dst_unused:UNUSED_PAD src0_sel:DWORD src1_sel:WORD_1
	v_add_f16_e32 v42, v42, v16
	v_add_f16_sdwa v57, v57, v16 dst_sel:DWORD dst_unused:UNUSED_PAD src0_sel:DWORD src1_sel:WORD_1
	v_sub_f16_sdwa v16, v16, v12 dst_sel:DWORD dst_unused:UNUSED_PAD src0_sel:WORD_1 src1_sel:WORD_1
	v_add_f16_sdwa v12, v12, v14 dst_sel:DWORD dst_unused:UNUSED_PAD src0_sel:WORD_1 src1_sel:WORD_1
	v_add_f16_e32 v42, v42, v10
	v_fma_f16 v12, v12, -0.5, v41
	v_add_f16_e32 v61, v42, v14
	v_add_f16_sdwa v42, v57, v10 dst_sel:DWORD dst_unused:UNUSED_PAD src0_sel:DWORD src1_sel:WORD_1
	v_fma_f16 v41, v59, s1, v12
	v_sub_f16_sdwa v10, v10, v14 dst_sel:DWORD dst_unused:UNUSED_PAD src0_sel:WORD_1 src1_sel:WORD_1
	v_fma_f16 v41, v55, s14, v41
	v_add_f16_e32 v10, v16, v10
	v_add_f16_e32 v16, v7, v1
	v_add_f16_sdwa v57, v42, v14 dst_sel:DWORD dst_unused:UNUSED_PAD src0_sel:DWORD src1_sel:WORD_1
	v_fma_f16 v14, v10, s12, v41
	v_fma_f16 v12, v59, s13, v12
	v_fma_f16 v16, v16, -0.5, v9
	v_sub_f16_sdwa v41, v5, v3 dst_sel:DWORD dst_unused:UNUSED_PAD src0_sel:WORD_1 src1_sel:WORD_1
	v_fma_f16 v12, v55, s0, v12
	v_fma_f16 v42, v41, s1, v16
	v_sub_f16_sdwa v55, v7, v1 dst_sel:DWORD dst_unused:UNUSED_PAD src0_sel:WORD_1 src1_sel:WORD_1
	v_sub_f16_e32 v59, v5, v7
	v_sub_f16_e32 v62, v3, v1
	v_fma_f16 v42, v55, s0, v42
	v_add_f16_e32 v59, v59, v62
	v_fma_f16 v62, v59, s12, v42
	v_fma_f16 v16, v41, s13, v16
	v_add_f16_e32 v42, v5, v3
	v_lshrrev_b32_e32 v60, 16, v9
	v_fma_f16 v10, v10, s12, v12
	v_add_f16_e32 v12, v9, v5
	v_fma_f16 v16, v55, s14, v16
	v_fma_f16 v9, v42, -0.5, v9
	v_fma_f16 v16, v59, s12, v16
	v_fma_f16 v42, v55, s13, v9
	v_sub_f16_e32 v59, v7, v5
	v_sub_f16_e32 v63, v1, v3
	v_fma_f16 v9, v55, s1, v9
	v_fma_f16 v42, v41, s0, v42
	v_add_f16_e32 v59, v59, v63
	v_fma_f16 v9, v41, s14, v9
	v_add_f16_sdwa v41, v7, v1 dst_sel:DWORD dst_unused:UNUSED_PAD src0_sel:WORD_1 src1_sel:WORD_1
	v_fma_f16 v63, v59, s12, v42
	v_fma_f16 v9, v59, s12, v9
	v_fma_f16 v41, v41, -0.5, v60
	v_sub_f16_e32 v55, v5, v3
	v_sub_f16_sdwa v42, v5, v7 dst_sel:DWORD dst_unused:UNUSED_PAD src0_sel:WORD_1 src1_sel:WORD_1
	v_sub_f16_sdwa v59, v3, v1 dst_sel:DWORD dst_unused:UNUSED_PAD src0_sel:WORD_1 src1_sel:WORD_1
	v_add_f16_e32 v42, v42, v59
	v_fma_f16 v59, v55, s13, v41
	v_sub_f16_e32 v65, v7, v1
	v_fma_f16 v41, v55, s1, v41
	v_fma_f16 v41, v65, s0, v41
	;; [unrolled: 1-line block ×3, first 2 shown]
	v_add_f16_sdwa v41, v60, v5 dst_sel:DWORD dst_unused:UNUSED_PAD src0_sel:DWORD src1_sel:WORD_1
	v_add_f16_e32 v12, v12, v7
	v_add_f16_sdwa v67, v41, v7 dst_sel:DWORD dst_unused:UNUSED_PAD src0_sel:DWORD src1_sel:WORD_1
	v_sub_f16_sdwa v7, v7, v5 dst_sel:DWORD dst_unused:UNUSED_PAD src0_sel:WORD_1 src1_sel:WORD_1
	v_add_f16_sdwa v5, v5, v3 dst_sel:DWORD dst_unused:UNUSED_PAD src0_sel:WORD_1 src1_sel:WORD_1
	v_fma_f16 v5, v5, -0.5, v60
	v_add_f16_e32 v12, v12, v1
	v_add_f16_sdwa v60, v67, v1 dst_sel:DWORD dst_unused:UNUSED_PAD src0_sel:DWORD src1_sel:WORD_1
	v_add_f16_e32 v12, v12, v3
	v_add_f16_sdwa v60, v60, v3 dst_sel:DWORD dst_unused:UNUSED_PAD src0_sel:DWORD src1_sel:WORD_1
	v_sub_f16_sdwa v1, v1, v3 dst_sel:DWORD dst_unused:UNUSED_PAD src0_sel:WORD_1 src1_sel:WORD_1
	v_fma_f16 v3, v65, s1, v5
	v_fma_f16 v3, v55, s14, v3
	v_add_f16_e32 v1, v7, v1
	v_fma_f16 v5, v65, s13, v5
	v_fma_f16 v3, v1, s12, v3
	v_fma_f16 v5, v55, s0, v5
	v_fma_f16 v59, v65, s14, v59
	v_fma_f16 v1, v1, s12, v5
	v_mul_f16_e32 v65, 0x3b9c, v3
	v_mul_f16_e32 v68, 0xb4f2, v9
	v_fma_f16 v59, v42, s12, v59
	v_mul_f16_e32 v7, 0x3a79, v62
	v_fma_f16 v65, v63, s12, v65
	v_fma_f16 v68, v1, s1, v68
	v_mul_f16_e32 v62, 0xb8b4, v62
	v_mul_f16_e32 v63, 0xbb9c, v63
	;; [unrolled: 1-line block ×3, first 2 shown]
	v_fma_f16 v7, v59, s0, v7
	v_fma_f16 v59, v59, s15, v62
	;; [unrolled: 1-line block ×3, first 2 shown]
	v_mul_f16_e32 v63, 0xba79, v16
	v_fma_f16 v1, v9, s13, v1
	v_mul_f16_e32 v9, 0xba79, v66
	v_add_f16_e32 v67, v56, v65
	v_fma_f16 v63, v66, s0, v63
	v_fma_f16 v9, v16, s14, v9
	v_add_f16_e32 v66, v58, v59
	v_sub_f16_e32 v56, v56, v65
	v_add_f16_e32 v65, v10, v1
	v_sub_f16_e32 v58, v58, v59
	v_sub_f16_e32 v59, v10, v1
	v_mul_lo_u16_e32 v1, 10, v109
	v_add_co_u32_e32 v42, vcc, s17, v109
	v_add_f16_e32 v62, v18, v68
	v_sub_f16_e32 v18, v18, v68
	v_add_f16_e32 v68, v53, v9
	v_sub_f16_e32 v53, v53, v9
	v_lshlrev_b32_e32 v129, 2, v1
	v_pack_b32_f16 v10, v50, v51
	v_pack_b32_f16 v47, v47, v49
	;; [unrolled: 1-line block ×4, first 2 shown]
	v_add_f16_e32 v5, v61, v12
	v_sub_f16_e32 v61, v61, v12
	s_barrier
	ds_write2_b64 v129, v[9:10], v[46:47] offset1:1
	v_pack_b32_f16 v9, v24, v27
	v_pack_b32_f16 v10, v25, v28
	;; [unrolled: 1-line block ×4, first 2 shown]
	v_mul_u32_u24_e32 v1, 10, v42
	v_add_f16_e32 v55, v54, v7
	v_sub_f16_e32 v7, v54, v7
	v_add_f16_e32 v54, v14, v3
	v_sub_f16_e32 v14, v14, v3
	ds_write2_b64 v129, v[11:12], v[9:10] offset0:2 offset1:3
	v_pack_b32_f16 v10, v19, v23
	v_pack_b32_f16 v9, v17, v22
	v_lshlrev_b32_e32 v132, 2, v1
	v_pack_b32_f16 v1, v2, v39
	v_pack_b32_f16 v3, v8, v45
	;; [unrolled: 1-line block ×4, first 2 shown]
	s_movk_i32 s17, 0xf0
	ds_write_b64 v129, v[9:10] offset:32
	ds_write2_b64 v132, v[0:1], v[2:3] offset1:1
	v_pack_b32_f16 v0, v34, v43
	v_pack_b32_f16 v1, v36, v44
	;; [unrolled: 1-line block ×4, first 2 shown]
	v_add_co_u32_e32 v41, vcc, s17, v109
	ds_write2_b64 v132, v[2:3], v[0:1] offset0:2 offset1:3
	v_pack_b32_f16 v1, v31, v37
	v_pack_b32_f16 v0, v29, v32
	v_add_f16_e32 v16, v57, v60
	ds_write_b64 v132, v[0:1] offset:32
	v_mul_u32_u24_e32 v0, 10, v41
	v_add_f16_e32 v69, v52, v63
	v_sub_f16_e32 v57, v57, v60
	v_lshlrev_b32_e32 v131, 2, v0
	v_pack_b32_f16 v1, v55, v66
	v_pack_b32_f16 v3, v62, v65
	;; [unrolled: 1-line block ×4, first 2 shown]
	v_sub_f16_e32 v52, v52, v63
	ds_write2_b64 v131, v[0:1], v[2:3] offset1:1
	v_pack_b32_f16 v0, v7, v58
	v_pack_b32_f16 v1, v56, v14
	;; [unrolled: 1-line block ×4, first 2 shown]
	ds_write2_b64 v131, v[2:3], v[0:1] offset0:2 offset1:3
	v_pack_b32_f16 v1, v52, v53
	v_pack_b32_f16 v0, v18, v59
	s_movk_i32 s17, 0xcd
	ds_write_b64 v131, v[0:1] offset:32
	v_mul_lo_u16_sdwa v0, v109, s17 dst_sel:DWORD dst_unused:UNUSED_PAD src0_sel:BYTE_0 src1_sel:DWORD
	v_lshrrev_b16_e32 v26, 11, v0
	v_mul_lo_u16_e32 v0, 10, v26
	v_sub_u16_e32 v0, v109, v0
	v_and_b32_e32 v27, 0xff, v0
	v_mad_u64_u32 v[8:9], s[22:23], v27, 36, s[2:3]
	s_waitcnt lgkmcnt(0)
	s_barrier
	global_load_dwordx4 v[4:7], v[8:9], off
	global_load_dwordx4 v[0:3], v[8:9], off offset:16
	global_load_dword v126, v[8:9], off offset:32
	ds_read2_b32 v[12:13], v119 offset0:112 offset1:232
	ds_read2_b32 v[39:40], v118 offset0:80 offset1:200
	;; [unrolled: 1-line block ×9, first 2 shown]
	s_waitcnt lgkmcnt(8)
	v_lshrrev_b32_e32 v8, 16, v13
	s_waitcnt lgkmcnt(7)
	v_lshrrev_b32_e32 v9, 16, v39
	;; [unrolled: 2-line block ×9, first 2 shown]
	ds_read2_b32 v[65:66], v113 offset1:120
	s_mov_b32 s18, 0xbaee
	s_waitcnt lgkmcnt(0)
	v_lshrrev_b32_e32 v145, 16, v65
	s_waitcnt vmcnt(2)
	v_mul_f16_sdwa v31, v8, v4 dst_sel:DWORD dst_unused:UNUSED_PAD src0_sel:DWORD src1_sel:WORD_1
	v_fma_f16 v44, v13, v4, -v31
	v_mul_f16_sdwa v13, v13, v4 dst_sel:DWORD dst_unused:UNUSED_PAD src0_sel:DWORD src1_sel:WORD_1
	v_fma_f16 v43, v8, v4, v13
	v_mul_f16_sdwa v8, v9, v5 dst_sel:DWORD dst_unused:UNUSED_PAD src0_sel:DWORD src1_sel:WORD_1
	v_fma_f16 v51, v39, v5, -v8
	v_mul_f16_sdwa v8, v39, v5 dst_sel:DWORD dst_unused:UNUSED_PAD src0_sel:DWORD src1_sel:WORD_1
	v_fma_f16 v48, v9, v5, v8
	;; [unrolled: 4-line block ×4, first 2 shown]
	s_waitcnt vmcnt(1)
	v_mul_f16_sdwa v8, v24, v0 dst_sel:DWORD dst_unused:UNUSED_PAD src0_sel:DWORD src1_sel:WORD_1
	v_fma_f16 v47, v19, v0, -v8
	v_mul_f16_sdwa v8, v19, v0 dst_sel:DWORD dst_unused:UNUSED_PAD src0_sel:DWORD src1_sel:WORD_1
	v_fma_f16 v45, v24, v0, v8
	v_mul_f16_sdwa v8, v25, v1 dst_sel:DWORD dst_unused:UNUSED_PAD src0_sel:DWORD src1_sel:WORD_1
	v_fma_f16 v54, v37, v1, -v8
	v_mul_f16_sdwa v8, v37, v1 dst_sel:DWORD dst_unused:UNUSED_PAD src0_sel:DWORD src1_sel:WORD_1
	v_fma_f16 v52, v25, v1, v8
	;; [unrolled: 4-line block ×3, first 2 shown]
	v_mul_f16_sdwa v8, v29, v3 dst_sel:DWORD dst_unused:UNUSED_PAD src0_sel:DWORD src1_sel:WORD_1
	s_waitcnt vmcnt(0)
	v_mul_f16_sdwa v13, v30, v126 dst_sel:DWORD dst_unused:UNUSED_PAD src0_sel:DWORD src1_sel:WORD_1
	v_fma_f16 v57, v22, v3, -v8
	v_mul_f16_sdwa v8, v22, v3 dst_sel:DWORD dst_unused:UNUSED_PAD src0_sel:DWORD src1_sel:WORD_1
	v_fma_f16 v55, v15, v126, -v13
	v_mul_f16_sdwa v13, v15, v126 dst_sel:DWORD dst_unused:UNUSED_PAD src0_sel:DWORD src1_sel:WORD_1
	v_fma_f16 v56, v29, v3, v8
	v_fma_f16 v22, v30, v126, v13
	v_sub_f16_e32 v13, v51, v53
	v_sub_f16_e32 v15, v57, v54
	v_add_f16_e32 v58, v13, v15
	v_sub_f16_e32 v13, v48, v50
	v_sub_f16_e32 v15, v56, v52
	v_add_f16_e32 v59, v13, v15
	;; [unrolled: 3-line block ×4, first 2 shown]
	v_add_f16_e32 v15, v45, v37
	v_add_f16_e32 v13, v47, v49
	v_fma_f16 v139, v15, -0.5, v43
	v_sub_f16_e32 v140, v46, v55
	v_fma_f16 v60, v13, -0.5, v44
	v_sub_f16_e32 v61, v39, v22
	v_fma_f16 v15, v140, s13, v139
	v_sub_f16_e32 v141, v47, v49
	v_fma_f16 v13, v61, s1, v60
	;; [unrolled: 2-line block ×3, first 2 shown]
	v_fma_f16 v13, v130, s0, v13
	v_fma_f16 v15, v63, s12, v15
	;; [unrolled: 1-line block ×3, first 2 shown]
	v_mul_f16_e32 v17, 0x38b4, v15
	v_fma_f16 v142, v13, s15, v17
	v_mul_f16_e32 v13, 0xb8b4, v13
	v_fma_f16 v143, v15, s15, v13
	v_mul_u32_u24_e32 v13, 0x64, v26
	v_add_lshl_u32 v127, v13, v27, 2
	v_add_f16_e32 v13, v65, v51
	v_add_f16_e32 v13, v13, v53
	;; [unrolled: 1-line block ×18, first 2 shown]
	v_pack_b32_f16 v149, v13, v15
	v_add_f16_e32 v13, v53, v54
	v_fma_f16 v150, v13, -0.5, v65
	v_sub_f16_e32 v151, v48, v56
	v_fma_f16 v13, v151, s1, v150
	v_sub_f16_e32 v152, v50, v52
	v_mul_lo_u16_sdwa v9, v42, s17 dst_sel:DWORD dst_unused:UNUSED_PAD src0_sel:BYTE_0 src1_sel:DWORD
	v_fma_f16 v13, v152, s0, v13
	v_lshrrev_b16_e32 v19, 11, v9
	v_fma_f16 v153, v58, s12, v13
	v_add_f16_e32 v13, v50, v52
	v_mul_lo_u16_e32 v9, 10, v19
	v_fma_f16 v154, v13, -0.5, v145
	v_sub_f16_e32 v155, v51, v57
	v_sub_u16_e32 v9, v42, v9
	v_fma_f16 v13, v155, s13, v154
	v_sub_f16_e32 v156, v53, v54
	v_and_b32_e32 v21, 0xff, v9
	v_fma_f16 v13, v156, s14, v13
	v_mad_u64_u32 v[24:25], s[22:23], v21, 36, s[2:3]
	v_fma_f16 v157, v59, s12, v13
	v_add_f16_e32 v13, v153, v142
	v_add_f16_e32 v15, v157, v143
	s_mov_b32 s17, 0xcccd
	v_pack_b32_f16 v158, v13, v15
	v_mul_u32_u24_sdwa v13, v41, s17 dst_sel:DWORD dst_unused:UNUSED_PAD src0_sel:WORD_0 src1_sel:DWORD
	v_lshrrev_b32_e32 v13, 19, v13
	global_load_dwordx4 v[8:11], v[24:25], off
	v_mul_lo_u16_e32 v15, 10, v13
	v_sub_u16_e32 v17, v41, v15
	v_mul_lo_u16_e32 v26, 36, v17
	v_mov_b32_e32 v15, s3
	v_add_co_u32_e32 v26, vcc, s2, v26
	v_addc_co_u32_e32 v27, vcc, 0, v15, vcc
	global_load_dword v125, v[26:27], off offset:32
	global_load_dword v128, v[24:25], off offset:32
	global_load_dwordx4 v[28:31], v[24:25], off offset:16
	v_sub_f16_e32 v53, v53, v51
	v_add_f16_e32 v51, v51, v57
	v_sub_f16_e32 v54, v54, v57
	v_fma_f16 v51, v51, -0.5, v65
	v_add_f16_e32 v53, v53, v54
	v_fma_f16 v54, v152, s13, v51
	v_fma_f16 v51, v152, s1, v51
	;; [unrolled: 1-line block ×6, first 2 shown]
	v_add_f16_e32 v53, v48, v56
	v_fma_f16 v53, v53, -0.5, v145
	v_sub_f16_e32 v48, v50, v48
	v_sub_f16_e32 v50, v52, v56
	v_add_f16_e32 v48, v48, v50
	v_fma_f16 v50, v156, s1, v53
	v_fma_f16 v52, v156, s13, v53
	ds_read2_b32 v[67:68], v99 offset0:96 offset1:216
	ds_read2_b32 v[69:70], v97 offset0:48 offset1:168
	;; [unrolled: 1-line block ×5, first 2 shown]
	global_load_dwordx4 v[32:35], v[26:27], off
	s_nop 0
	global_load_dwordx4 v[24:27], v[26:27], off offset:16
	v_fma_f16 v50, v155, s14, v50
	v_fma_f16 v52, v155, s0, v52
	;; [unrolled: 1-line block ×4, first 2 shown]
	v_add_f16_e32 v52, v46, v55
	v_fma_f16 v44, v52, -0.5, v44
	v_sub_f16_e32 v46, v47, v46
	v_sub_f16_e32 v47, v49, v55
	v_add_f16_e32 v46, v46, v47
	v_fma_f16 v47, v130, s13, v44
	v_fma_f16 v44, v130, s1, v44
	;; [unrolled: 1-line block ×6, first 2 shown]
	v_add_f16_e32 v46, v39, v22
	v_fma_f16 v43, v46, -0.5, v43
	v_sub_f16_e32 v39, v45, v39
	v_sub_f16_e32 v22, v37, v22
	v_fma_f16 v37, v141, s1, v43
	v_add_f16_e32 v22, v39, v22
	v_fma_f16 v37, v140, s14, v37
	v_fma_f16 v39, v141, s13, v43
	;; [unrolled: 1-line block ×4, first 2 shown]
	v_mul_f16_e32 v43, 0xbb9c, v47
	v_fma_f16 v22, v22, s12, v39
	v_mul_f16_e32 v39, 0x3b9c, v37
	v_fma_f16 v37, v37, s12, v43
	;; [unrolled: 2-line block ×3, first 2 shown]
	v_fma_f16 v43, v22, s1, v43
	v_mul_f16_e32 v22, 0xb4f2, v22
	v_fma_f16 v22, v44, s13, v22
	v_add_f16_e32 v44, v54, v39
	v_add_f16_e32 v45, v50, v37
	v_pack_b32_f16 v44, v44, v45
	v_add_f16_e32 v45, v51, v43
	v_add_f16_e32 v46, v48, v22
	v_pack_b32_f16 v45, v45, v46
	v_fma_f16 v46, v61, s13, v60
	v_fma_f16 v46, v130, s14, v46
	;; [unrolled: 1-line block ×5, first 2 shown]
	s_waitcnt vmcnt(0) lgkmcnt(0)
	s_barrier
	ds_write2_b32 v127, v44, v45 offset0:20 offset1:30
	v_fma_f16 v44, v151, s13, v150
	v_fma_f16 v45, v155, s1, v154
	;; [unrolled: 1-line block ×3, first 2 shown]
	v_mul_f16_e32 v49, 0xba79, v46
	v_fma_f16 v44, v152, s14, v44
	v_fma_f16 v45, v156, s0, v45
	v_fma_f16 v49, v47, s0, v49
	v_mul_f16_e32 v47, 0xba79, v47
	v_fma_f16 v44, v58, s12, v44
	v_fma_f16 v45, v59, s12, v45
	;; [unrolled: 1-line block ×3, first 2 shown]
	v_sub_f16_e32 v47, v144, v147
	v_sub_f16_e32 v52, v146, v148
	v_add_f16_e32 v53, v44, v49
	v_add_f16_e32 v55, v45, v46
	v_pack_b32_f16 v53, v53, v55
	v_pack_b32_f16 v47, v47, v52
	ds_write2_b32 v127, v53, v47 offset0:40 offset1:50
	v_sub_f16_e32 v47, v153, v142
	v_sub_f16_e32 v39, v54, v39
	;; [unrolled: 1-line block ×4, first 2 shown]
	v_pack_b32_f16 v47, v47, v52
	v_pack_b32_f16 v37, v39, v37
	ds_write2_b32 v127, v47, v37 offset0:60 offset1:70
	v_sub_f16_e32 v37, v51, v43
	v_sub_f16_e32 v39, v44, v49
	;; [unrolled: 1-line block ×4, first 2 shown]
	v_pack_b32_f16 v22, v37, v22
	v_pack_b32_f16 v37, v39, v43
	ds_write2_b32 v127, v22, v37 offset0:80 offset1:90
	v_lshrrev_b32_e32 v22, 16, v40
	v_mul_f16_sdwa v39, v40, v9 dst_sel:DWORD dst_unused:UNUSED_PAD src0_sel:DWORD src1_sel:WORD_1
	v_mul_f16_sdwa v37, v22, v9 dst_sel:DWORD dst_unused:UNUSED_PAD src0_sel:DWORD src1_sel:WORD_1
	v_fma_f16 v22, v22, v9, v39
	v_lshrrev_b32_e32 v39, 16, v36
	v_fma_f16 v37, v40, v9, -v37
	v_mul_f16_sdwa v40, v39, v11 dst_sel:DWORD dst_unused:UNUSED_PAD src0_sel:DWORD src1_sel:WORD_1
	v_fma_f16 v40, v36, v11, -v40
	v_mul_f16_sdwa v36, v36, v11 dst_sel:DWORD dst_unused:UNUSED_PAD src0_sel:DWORD src1_sel:WORD_1
	v_fma_f16 v36, v39, v11, v36
	v_lshrrev_b32_e32 v39, 16, v38
	v_mul_f16_sdwa v43, v39, v29 dst_sel:DWORD dst_unused:UNUSED_PAD src0_sel:DWORD src1_sel:WORD_1
	v_fma_f16 v43, v38, v29, -v43
	v_mul_f16_sdwa v38, v38, v29 dst_sel:DWORD dst_unused:UNUSED_PAD src0_sel:DWORD src1_sel:WORD_1
	v_fma_f16 v38, v39, v29, v38
	v_lshrrev_b32_e32 v39, 16, v23
	v_mul_f16_sdwa v44, v39, v31 dst_sel:DWORD dst_unused:UNUSED_PAD src0_sel:DWORD src1_sel:WORD_1
	v_fma_f16 v44, v23, v31, -v44
	v_mul_f16_sdwa v23, v23, v31 dst_sel:DWORD dst_unused:UNUSED_PAD src0_sel:DWORD src1_sel:WORD_1
	v_fma_f16 v23, v39, v31, v23
	v_sub_f16_e32 v48, v37, v40
	v_sub_f16_e32 v49, v44, v43
	v_add_f16_e32 v48, v48, v49
	v_sub_f16_e32 v49, v22, v36
	v_sub_f16_e32 v50, v23, v38
	v_add_f16_e32 v49, v49, v50
	v_lshrrev_b32_e32 v50, 16, v69
	v_mul_f16_sdwa v51, v69, v10 dst_sel:DWORD dst_unused:UNUSED_PAD src0_sel:DWORD src1_sel:WORD_1
	v_lshrrev_b32_e32 v52, 16, v133
	v_mul_f16_sdwa v53, v133, v28 dst_sel:DWORD dst_unused:UNUSED_PAD src0_sel:DWORD src1_sel:WORD_1
	;; [unrolled: 2-line block ×4, first 2 shown]
	v_fma_f16 v51, v50, v10, v51
	v_mul_f16_sdwa v50, v50, v10 dst_sel:DWORD dst_unused:UNUSED_PAD src0_sel:DWORD src1_sel:WORD_1
	v_fma_f16 v53, v52, v28, v53
	v_mul_f16_sdwa v52, v52, v28 dst_sel:DWORD dst_unused:UNUSED_PAD src0_sel:DWORD src1_sel:WORD_1
	;; [unrolled: 2-line block ×4, first 2 shown]
	v_fma_f16 v50, v69, v10, -v50
	v_fma_f16 v52, v133, v28, -v52
	v_fma_f16 v54, v135, v30, -v54
	v_fma_f16 v56, v137, v128, -v56
	v_sub_f16_e32 v58, v50, v52
	v_sub_f16_e32 v59, v56, v54
	v_add_f16_e32 v58, v58, v59
	v_sub_f16_e32 v59, v51, v53
	v_sub_f16_e32 v60, v57, v55
	v_add_f16_e32 v59, v59, v60
	v_lshrrev_b32_e32 v60, 16, v67
	v_mul_f16_sdwa v61, v67, v8 dst_sel:DWORD dst_unused:UNUSED_PAD src0_sel:DWORD src1_sel:WORD_1
	v_fma_f16 v61, v60, v8, v61
	v_mul_f16_sdwa v60, v60, v8 dst_sel:DWORD dst_unused:UNUSED_PAD src0_sel:DWORD src1_sel:WORD_1
	v_fma_f16 v60, v67, v8, -v60
	v_add_f16_e32 v67, v53, v55
	v_add_f16_e32 v62, v52, v54
	v_fma_f16 v67, v67, -0.5, v61
	v_sub_f16_e32 v69, v50, v56
	v_add_f16_e32 v39, v40, v43
	v_add_f16_e32 v45, v37, v44
	v_fma_f16 v62, v62, -0.5, v60
	v_sub_f16_e32 v63, v51, v57
	v_fma_f16 v130, v69, s13, v67
	v_sub_f16_e32 v133, v52, v54
	v_fma_f16 v39, v39, -0.5, v66
	v_fma_f16 v45, v45, -0.5, v66
	v_lshrrev_b32_e32 v46, 16, v66
	v_add_f16_e32 v47, v66, v37
	v_fma_f16 v65, v63, s1, v62
	v_sub_f16_e32 v66, v53, v55
	v_fma_f16 v130, v133, s14, v130
	v_fma_f16 v65, v66, s0, v65
	;; [unrolled: 1-line block ×4, first 2 shown]
	v_mul_f16_e32 v135, 0x38b4, v130
	v_fma_f16 v135, v65, s15, v135
	v_mul_f16_e32 v65, 0xb8b4, v65
	v_mul_u32_u24_e32 v19, 0x64, v19
	v_fma_f16 v65, v130, s15, v65
	v_add_lshl_u32 v130, v19, v21, 2
	v_add_f16_e32 v19, v47, v40
	v_add_f16_e32 v21, v46, v22
	;; [unrolled: 1-line block ×17, first 2 shown]
	v_sub_f16_e32 v142, v36, v38
	v_sub_f16_e32 v144, v37, v44
	;; [unrolled: 1-line block ×5, first 2 shown]
	v_pack_b32_f16 v139, v139, v140
	v_sub_f16_e32 v140, v22, v23
	v_add_f16_e32 v37, v37, v40
	v_fma_f16 v40, v142, s13, v45
	v_fma_f16 v43, v142, s1, v45
	;; [unrolled: 1-line block ×6, first 2 shown]
	v_add_f16_e32 v43, v22, v23
	v_fma_f16 v43, v43, -0.5, v46
	v_sub_f16_e32 v22, v36, v22
	v_sub_f16_e32 v23, v38, v23
	v_add_f16_e32 v143, v36, v38
	v_add_f16_e32 v22, v22, v23
	v_fma_f16 v23, v146, s1, v43
	v_fma_f16 v36, v146, s13, v43
	;; [unrolled: 1-line block ×6, first 2 shown]
	v_add_f16_e32 v36, v50, v56
	v_fma_f16 v36, v36, -0.5, v60
	v_sub_f16_e32 v38, v52, v50
	v_sub_f16_e32 v43, v54, v56
	v_add_f16_e32 v38, v38, v43
	v_fma_f16 v43, v66, s13, v36
	v_fma_f16 v36, v66, s1, v36
	;; [unrolled: 1-line block ×6, first 2 shown]
	v_add_f16_e32 v38, v51, v57
	v_fma_f16 v38, v38, -0.5, v61
	v_sub_f16_e32 v44, v53, v51
	v_sub_f16_e32 v45, v55, v57
	v_add_f16_e32 v44, v44, v45
	v_fma_f16 v45, v133, s1, v38
	v_fma_f16 v45, v69, s14, v45
	;; [unrolled: 1-line block ×6, first 2 shown]
	v_mul_f16_e32 v44, 0x3b9c, v45
	v_fma_f16 v44, v43, s12, v44
	v_mul_f16_e32 v43, 0xbb9c, v43
	v_fma_f16 v43, v45, s12, v43
	;; [unrolled: 2-line block ×3, first 2 shown]
	v_mul_f16_e32 v38, 0xb4f2, v38
	v_fma_f16 v143, v143, -0.5, v46
	v_fma_f16 v36, v36, s13, v38
	v_add_f16_e32 v38, v40, v44
	v_add_f16_e32 v46, v23, v43
	v_pack_b32_f16 v38, v38, v46
	v_add_f16_e32 v46, v37, v45
	v_add_f16_e32 v50, v22, v36
	v_pack_b32_f16 v46, v46, v50
	ds_write2_b32 v127, v149, v158 offset1:10
	ds_write2_b32 v130, v38, v46 offset0:20 offset1:30
	v_lshrrev_b32_e32 v38, 16, v68
	v_mul_f16_sdwa v50, v68, v32 dst_sel:DWORD dst_unused:UNUSED_PAD src0_sel:DWORD src1_sel:WORD_1
	v_mul_f16_sdwa v46, v38, v32 dst_sel:DWORD dst_unused:UNUSED_PAD src0_sel:DWORD src1_sel:WORD_1
	v_fma_f16 v38, v38, v32, v50
	v_lshrrev_b32_e32 v50, 16, v20
	v_mul_f16_sdwa v51, v50, v33 dst_sel:DWORD dst_unused:UNUSED_PAD src0_sel:DWORD src1_sel:WORD_1
	v_fma_f16 v51, v20, v33, -v51
	v_mul_f16_sdwa v20, v20, v33 dst_sel:DWORD dst_unused:UNUSED_PAD src0_sel:DWORD src1_sel:WORD_1
	v_fma_f16 v20, v50, v33, v20
	v_lshrrev_b32_e32 v50, 16, v70
	v_mul_f16_sdwa v53, v70, v34 dst_sel:DWORD dst_unused:UNUSED_PAD src0_sel:DWORD src1_sel:WORD_1
	v_mul_f16_sdwa v52, v50, v34 dst_sel:DWORD dst_unused:UNUSED_PAD src0_sel:DWORD src1_sel:WORD_1
	v_fma_f16 v50, v50, v34, v53
	v_lshrrev_b32_e32 v53, 16, v18
	v_mul_f16_sdwa v54, v53, v35 dst_sel:DWORD dst_unused:UNUSED_PAD src0_sel:DWORD src1_sel:WORD_1
	v_fma_f16 v54, v18, v35, -v54
	v_mul_f16_sdwa v18, v18, v35 dst_sel:DWORD dst_unused:UNUSED_PAD src0_sel:DWORD src1_sel:WORD_1
	v_fma_f16 v53, v53, v35, v18
	;; [unrolled: 9-line block ×3, first 2 shown]
	v_lshrrev_b32_e32 v16, 16, v136
	v_mul_f16_sdwa v18, v16, v26 dst_sel:DWORD dst_unused:UNUSED_PAD src0_sel:DWORD src1_sel:WORD_1
	v_fma_f16 v61, v136, v26, -v18
	v_mul_f16_sdwa v18, v136, v26 dst_sel:DWORD dst_unused:UNUSED_PAD src0_sel:DWORD src1_sel:WORD_1
	v_fma_f16 v46, v68, v32, -v46
	v_fma_f16 v68, v16, v26, v18
	v_lshrrev_b32_e32 v16, 16, v14
	v_mul_f16_sdwa v18, v16, v27 dst_sel:DWORD dst_unused:UNUSED_PAD src0_sel:DWORD src1_sel:WORD_1
	v_fma_f16 v52, v70, v34, -v52
	v_fma_f16 v70, v14, v27, -v18
	v_mul_f16_sdwa v14, v14, v27 dst_sel:DWORD dst_unused:UNUSED_PAD src0_sel:DWORD src1_sel:WORD_1
	v_fma_f16 v55, v134, v24, -v55
	v_fma_f16 v134, v16, v27, v14
	v_lshrrev_b32_e32 v14, 16, v138
	v_mul_f16_sdwa v16, v14, v125 dst_sel:DWORD dst_unused:UNUSED_PAD src0_sel:DWORD src1_sel:WORD_1
	v_fma_f16 v136, v138, v125, -v16
	v_mul_f16_sdwa v16, v138, v125 dst_sel:DWORD dst_unused:UNUSED_PAD src0_sel:DWORD src1_sel:WORD_1
	v_fma_f16 v138, v14, v125, v16
	v_fma_f16 v14, v140, s13, v39
	;; [unrolled: 1-line block ×17, first 2 shown]
	v_mul_f16_e32 v48, 0xba79, v14
	v_fma_f16 v145, v146, s14, v145
	v_fma_f16 v48, v18, s0, v48
	v_mul_f16_e32 v18, 0xba79, v18
	v_fma_f16 v145, v49, s12, v145
	v_fma_f16 v49, v14, s14, v18
	v_sub_f16_e32 v14, v37, v45
	v_add_f16_e32 v37, v16, v48
	v_sub_f16_e32 v16, v16, v48
	v_sub_f16_e32 v18, v22, v36
	v_add_f16_e32 v22, v39, v49
	v_sub_f16_e32 v36, v39, v49
	v_add_f16_e32 v39, v54, v57
	v_sub_f16_e32 v48, v51, v54
	v_sub_f16_e32 v49, v70, v57
	v_fma_f16 v39, v39, -0.5, v12
	v_add_f16_e32 v48, v48, v49
	v_sub_f16_e32 v49, v20, v134
	v_fma_f16 v58, v49, s1, v39
	v_sub_f16_e32 v59, v53, v60
	v_fma_f16 v39, v49, s13, v39
	v_sub_f16_e32 v23, v23, v43
	v_add_f16_e32 v43, v51, v70
	v_fma_f16 v58, v59, s0, v58
	v_fma_f16 v39, v59, s14, v39
	v_fma_f16 v43, v43, -0.5, v12
	v_fma_f16 v58, v48, s12, v58
	v_fma_f16 v39, v48, s12, v39
	v_sub_f16_e32 v48, v54, v51
	v_sub_f16_e32 v62, v57, v70
	v_lshrrev_b32_e32 v45, 16, v12
	v_add_f16_e32 v12, v12, v51
	v_add_f16_e32 v48, v48, v62
	v_fma_f16 v62, v59, s13, v43
	v_fma_f16 v43, v59, s1, v43
	;; [unrolled: 1-line block ×4, first 2 shown]
	v_add_f16_e32 v12, v12, v54
	v_fma_f16 v49, v48, s12, v59
	v_fma_f16 v43, v48, s12, v43
	v_add_f16_e32 v12, v12, v57
	v_sub_f16_e32 v48, v51, v70
	v_sub_f16_e32 v51, v54, v57
	v_sub_f16_e32 v54, v20, v53
	v_sub_f16_e32 v57, v134, v60
	v_add_f16_e32 v54, v54, v57
	v_add_f16_e32 v57, v53, v60
	v_fma_f16 v57, v57, -0.5, v45
	v_fma_f16 v59, v48, s13, v57
	v_fma_f16 v57, v48, s1, v57
	;; [unrolled: 1-line block ×6, first 2 shown]
	v_add_f16_e32 v57, v20, v134
	v_fma_f16 v57, v57, -0.5, v45
	v_add_f16_e32 v45, v45, v20
	v_add_f16_e32 v45, v45, v53
	v_sub_f16_e32 v20, v53, v20
	v_sub_f16_e32 v53, v60, v134
	v_add_f16_e32 v20, v20, v53
	v_fma_f16 v53, v51, s1, v57
	v_fma_f16 v51, v51, s13, v57
	;; [unrolled: 1-line block ×6, first 2 shown]
	v_sub_f16_e32 v48, v52, v55
	v_sub_f16_e32 v53, v136, v61
	v_add_f16_e32 v48, v48, v53
	v_add_f16_e32 v53, v55, v61
	v_fma_f16 v53, v53, -0.5, v46
	v_sub_f16_e32 v57, v50, v138
	v_add_f16_e32 v45, v45, v60
	v_fma_f16 v60, v57, s1, v53
	v_sub_f16_e32 v62, v56, v68
	v_fma_f16 v53, v57, s13, v53
	v_fma_f16 v60, v62, s0, v60
	;; [unrolled: 1-line block ×5, first 2 shown]
	v_sub_f16_e32 v53, v55, v52
	v_sub_f16_e32 v63, v61, v136
	v_add_f16_e32 v53, v53, v63
	v_add_f16_e32 v63, v52, v136
	v_fma_f16 v63, v63, -0.5, v46
	v_add_f16_e32 v148, v145, v65
	v_sub_f16_e32 v40, v40, v44
	v_sub_f16_e32 v44, v145, v65
	v_fma_f16 v65, v62, s13, v63
	v_fma_f16 v62, v62, s1, v63
	v_add_f16_e32 v46, v46, v52
	v_fma_f16 v63, v57, s0, v65
	v_fma_f16 v57, v57, s14, v62
	v_add_f16_e32 v46, v46, v55
	;; [unrolled: 3-line block ×3, first 2 shown]
	v_sub_f16_e32 v55, v55, v61
	v_sub_f16_e32 v57, v50, v56
	v_sub_f16_e32 v61, v138, v68
	v_add_f16_e32 v57, v57, v61
	v_add_f16_e32 v61, v56, v68
	v_sub_f16_e32 v52, v52, v136
	v_fma_f16 v61, v61, -0.5, v38
	v_fma_f16 v63, v52, s13, v61
	v_fma_f16 v61, v52, s1, v61
	;; [unrolled: 1-line block ×6, first 2 shown]
	v_add_f16_e32 v61, v50, v138
	v_fma_f16 v61, v61, -0.5, v38
	v_add_f16_e32 v38, v38, v50
	v_add_f16_e32 v38, v38, v56
	v_sub_f16_e32 v50, v56, v50
	v_sub_f16_e32 v56, v68, v138
	v_add_f16_e32 v50, v50, v56
	v_fma_f16 v56, v55, s1, v61
	v_fma_f16 v55, v55, s13, v61
	;; [unrolled: 1-line block ×6, first 2 shown]
	v_mul_f16_e32 v52, 0x38b4, v63
	v_mul_f16_e32 v61, 0xbb9c, v62
	v_fma_f16 v52, v60, s15, v52
	v_mul_f16_e32 v56, 0xb8b4, v60
	v_mul_f16_e32 v60, 0x3b9c, v55
	v_fma_f16 v55, v55, s12, v61
	v_mul_f16_e32 v61, 0xb4f2, v53
	v_fma_f16 v61, v50, s1, v61
	v_mul_f16_e32 v50, 0xb4f2, v50
	v_add_f16_e32 v38, v38, v68
	v_fma_f16 v50, v53, s13, v50
	v_mul_f16_e32 v53, 0xba79, v48
	v_sub_f16_e32 v19, v19, v47
	v_sub_f16_e32 v21, v21, v137
	v_add_f16_e32 v12, v12, v70
	v_add_f16_e32 v45, v45, v134
	;; [unrolled: 1-line block ×4, first 2 shown]
	v_fma_f16 v56, v63, s15, v56
	v_fma_f16 v60, v62, s12, v60
	v_fma_f16 v53, v57, s0, v53
	v_mul_f16_e32 v57, 0xba79, v57
	s_movk_i32 s17, 0x64
	v_add_f16_e32 v147, v141, v135
	v_sub_f16_e32 v47, v141, v135
	v_fma_f16 v48, v48, s14, v57
	v_add_f16_e32 v57, v12, v46
	v_sub_f16_e32 v12, v12, v46
	v_add_f16_e32 v46, v58, v52
	v_sub_f16_e32 v52, v58, v52
	;; [unrolled: 2-line block ×6, first 2 shown]
	v_add_f16_e32 v45, v59, v56
	v_pack_b32_f16 v22, v37, v22
	v_pack_b32_f16 v19, v19, v21
	v_pack_b32_f16 v14, v14, v18
	v_pack_b32_f16 v16, v16, v36
	v_mad_legacy_u16 v13, v13, s17, v17
	v_pack_b32_f16 v147, v147, v148
	v_sub_f16_e32 v56, v59, v56
	v_add_f16_e32 v59, v51, v55
	v_sub_f16_e32 v51, v51, v55
	v_add_f16_e32 v55, v20, v50
	ds_write2_b32 v130, v22, v19 offset0:40 offset1:50
	v_pack_b32_f16 v19, v47, v44
	v_pack_b32_f16 v21, v40, v23
	ds_write2_b32 v130, v14, v16 offset0:80 offset1:90
	v_lshlrev_b32_e32 v148, 2, v13
	v_pack_b32_f16 v13, v57, v53
	v_pack_b32_f16 v14, v46, v45
	ds_write2_b32 v130, v139, v147 offset1:10
	v_sub_f16_e32 v20, v20, v50
	v_add_f16_e32 v50, v54, v48
	ds_write2_b32 v130, v19, v21 offset0:60 offset1:70
	ds_write2_b32 v148, v13, v14 offset1:10
	v_pack_b32_f16 v13, v58, v59
	v_pack_b32_f16 v14, v60, v55
	ds_write2_b32 v148, v13, v14 offset0:20 offset1:30
	v_pack_b32_f16 v13, v61, v50
	v_pack_b32_f16 v12, v12, v38
	v_sub_f16_e32 v48, v54, v48
	ds_write2_b32 v148, v13, v12 offset0:40 offset1:50
	v_pack_b32_f16 v12, v52, v56
	v_pack_b32_f16 v13, v49, v51
	ds_write2_b32 v148, v12, v13 offset0:60 offset1:70
	v_pack_b32_f16 v12, v43, v20
	v_pack_b32_f16 v13, v39, v48
	ds_write2_b32 v148, v12, v13 offset0:80 offset1:90
	v_add_u32_e32 v12, 0xffffff9c, v109
	v_cmp_gt_u16_e32 vcc, s17, v109
	v_cndmask_b32_e32 v40, v12, v109, vcc
	v_mul_i32_i24_e32 v12, 20, v40
	v_mul_hi_i32_i24_e32 v13, 20, v40
	v_add_co_u32_e32 v12, vcc, s2, v12
	v_addc_co_u32_e32 v13, vcc, v15, v13, vcc
	s_waitcnt lgkmcnt(0)
	s_barrier
	global_load_dwordx4 v[16:19], v[12:13], off offset:360
	global_load_dword v135, v[12:13], off offset:376
	ds_read2_b32 v[22:23], v113 offset1:120
	ds_read2_b32 v[38:39], v97 offset0:48 offset1:168
	ds_read2_b32 v[36:37], v112 offset0:96 offset1:216
	;; [unrolled: 1-line block ×3, first 2 shown]
	s_movk_i32 s17, 0x3aee
	s_waitcnt lgkmcnt(3)
	v_lshrrev_b32_e32 v14, 16, v22
	s_waitcnt lgkmcnt(2)
	v_lshrrev_b32_e32 v20, 16, v38
	;; [unrolled: 2-line block ×4, first 2 shown]
	s_waitcnt vmcnt(1)
	v_mul_f16_sdwa v43, v20, v17 dst_sel:DWORD dst_unused:UNUSED_PAD src0_sel:DWORD src1_sel:WORD_1
	v_fma_f16 v45, v38, v17, -v43
	v_mul_f16_sdwa v38, v38, v17 dst_sel:DWORD dst_unused:UNUSED_PAD src0_sel:DWORD src1_sel:WORD_1
	v_fma_f16 v20, v20, v17, v38
	v_mul_f16_sdwa v38, v21, v19 dst_sel:DWORD dst_unused:UNUSED_PAD src0_sel:DWORD src1_sel:WORD_1
	v_fma_f16 v46, v36, v19, -v38
	v_mul_f16_sdwa v36, v36, v19 dst_sel:DWORD dst_unused:UNUSED_PAD src0_sel:DWORD src1_sel:WORD_1
	v_fma_f16 v21, v21, v19, v36
	v_mov_b32_e32 v36, 41
	v_mul_lo_u16_sdwa v36, v42, v36 dst_sel:DWORD dst_unused:UNUSED_PAD src0_sel:BYTE_0 src1_sel:DWORD
	v_lshrrev_b16_e32 v60, 12, v36
	v_mul_lo_u16_e32 v36, 0x64, v60
	v_sub_u16_e32 v47, v42, v36
	v_lshrrev_b16_e32 v36, 2, v41
	v_mul_u32_u24_e32 v36, 0x147b, v36
	v_lshrrev_b32_e32 v58, 17, v36
	v_mul_lo_u16_e32 v36, 0x64, v58
	v_sub_u16_e32 v59, v41, v36
	v_mul_lo_u16_e32 v36, 20, v59
	v_add_co_u32_e32 v41, vcc, s2, v36
	v_add_u16_e32 v36, 0x168, v109
	v_lshrrev_b16_e32 v38, 2, v36
	v_mul_u32_u24_e32 v38, 0x147b, v38
	v_lshrrev_b32_e32 v56, 17, v38
	v_mul_lo_u16_e32 v38, 0x64, v56
	v_sub_u16_e32 v57, v36, v38
	v_addc_co_u32_e32 v42, vcc, 0, v15, vcc
	v_mul_lo_u16_e32 v36, 20, v57
	v_add_u16_e32 v38, 0x1e0, v109
	v_add_co_u32_e32 v43, vcc, s2, v36
	v_lshrrev_b16_e32 v36, 2, v38
	v_mul_u32_u24_e32 v36, 0x147b, v36
	v_lshrrev_b32_e32 v36, 17, v36
	v_mul_lo_u16_e32 v48, 0x64, v36
	v_sub_u16_e32 v38, v38, v48
	v_addc_co_u32_e32 v44, vcc, 0, v15, vcc
	v_mul_lo_u16_e32 v48, 20, v38
	v_add_co_u32_e32 v61, vcc, s2, v48
	v_addc_co_u32_e32 v62, vcc, 0, v15, vcc
	v_add_f16_e32 v15, v14, v20
	v_sub_f16_e32 v63, v20, v21
	v_add_f16_e32 v133, v15, v21
	v_add_f16_e32 v15, v20, v21
	;; [unrolled: 1-line block ×4, first 2 shown]
	ds_read2_b32 v[20:21], v115 offset0:16 offset1:136
	v_fma_f16 v138, v15, -0.5, v14
	ds_read2_b32 v[14:15], v110 offset0:64 offset1:184
	v_add_f16_e32 v48, v45, v46
	v_sub_f16_e32 v139, v45, v46
	v_mul_f16_sdwa v45, v13, v16 dst_sel:DWORD dst_unused:UNUSED_PAD src0_sel:DWORD src1_sel:WORD_1
	v_fma_f16 v50, v49, v16, v45
	s_waitcnt lgkmcnt(1)
	v_lshrrev_b32_e32 v51, 16, v21
	v_mul_f16_sdwa v45, v21, v18 dst_sel:DWORD dst_unused:UNUSED_PAD src0_sel:DWORD src1_sel:WORD_1
	v_fma_f16 v65, v51, v18, v45
	s_waitcnt lgkmcnt(0)
	v_lshrrev_b32_e32 v66, 16, v15
	s_waitcnt vmcnt(0)
	v_mul_f16_sdwa v45, v15, v135 dst_sel:DWORD dst_unused:UNUSED_PAD src0_sel:DWORD src1_sel:WORD_1
	v_and_b32_e32 v144, 0xff, v47
	v_fma_f16 v67, v66, v135, v45
	v_mad_u64_u32 v[45:46], s[22:23], v144, 20, s[2:3]
	global_load_dword v149, v[45:46], off offset:376
	global_load_dwordx4 v[52:55], v[45:46], off offset:360
	v_add_f16_e32 v45, v65, v67
	v_fma_f16 v153, v45, -0.5, v50
	v_mul_f16_sdwa v45, v49, v16 dst_sel:DWORD dst_unused:UNUSED_PAD src0_sel:DWORD src1_sel:WORD_1
	v_fma_f16 v13, v13, v16, -v45
	v_mul_f16_sdwa v45, v51, v18 dst_sel:DWORD dst_unused:UNUSED_PAD src0_sel:DWORD src1_sel:WORD_1
	v_fma_f16 v21, v21, v18, -v45
	;; [unrolled: 2-line block ×3, first 2 shown]
	v_add_f16_e32 v45, v21, v15
	v_fma_f16 v154, v45, -0.5, v13
	v_add_f16_e32 v13, v13, v21
	v_add_f16_e32 v13, v13, v15
	v_sub_f16_e32 v15, v21, v15
	v_sub_f16_e32 v152, v65, v67
	v_fma_f16 v45, v15, s18, v153
	v_fma_f16 v21, v152, s17, v154
	v_mul_f16_e32 v46, 0x3aee, v45
	v_fma_f16 v155, v21, 0.5, v46
	v_mul_f16_e32 v21, 0xbaee, v21
	v_add_f16_e32 v47, v50, v65
	v_fma_f16 v158, v45, 0.5, v21
	v_mov_b32_e32 v21, 0x258
	v_cmp_lt_u16_e32 vcc, s21, v109
	v_add_f16_e32 v151, v47, v67
	v_cndmask_b32_e32 v21, 0, v21, vcc
	v_add_lshl_u32 v150, v40, v21, 2
	v_add_f16_e32 v21, v134, v13
	v_add_f16_e32 v40, v133, v151
	v_pack_b32_f16 v159, v21, v40
	v_fma_f16 v160, v48, -0.5, v22
	global_load_dword v147, v[41:42], off offset:376
	global_load_dwordx4 v[48:51], v[41:42], off offset:360
	global_load_dword v146, v[43:44], off offset:376
	s_nop 0
	global_load_dwordx4 v[44:47], v[43:44], off offset:360
	s_nop 0
	global_load_dword v145, v[61:62], off offset:376
	global_load_dwordx4 v[40:43], v[61:62], off offset:360
	v_fma_f16 v162, v139, s18, v138
	v_fma_f16 v138, v139, s17, v138
	;; [unrolled: 1-line block ×4, first 2 shown]
	v_mul_f16_e32 v152, -0.5, v139
	v_fma_f16 v152, v15, s17, v152
	v_mul_f16_e32 v15, -0.5, v15
	v_fma_f16 v161, v63, s17, v160
	v_fma_f16 v63, v63, s18, v160
	;; [unrolled: 1-line block ×3, first 2 shown]
	v_sub_f16_e32 v13, v134, v13
	v_sub_f16_e32 v133, v133, v151
	v_add_f16_e32 v134, v63, v152
	v_add_f16_e32 v139, v138, v15
	;; [unrolled: 1-line block ×4, first 2 shown]
	v_pack_b32_f16 v134, v134, v139
	v_pack_b32_f16 v13, v13, v133
	v_add_u32_e32 v151, 0x200, v150
	v_pack_b32_f16 v163, v21, v22
	ds_read2_b32 v[21:22], v118 offset0:80 offset1:200
	ds_read2_b32 v[61:62], v96 offset0:128 offset1:248
	;; [unrolled: 1-line block ×9, first 2 shown]
	s_waitcnt vmcnt(0) lgkmcnt(0)
	s_barrier
	ds_write2_b32 v151, v134, v13 offset0:72 offset1:172
	v_sub_f16_e32 v13, v161, v155
	v_sub_f16_e32 v63, v63, v152
	;; [unrolled: 1-line block ×4, first 2 shown]
	v_pack_b32_f16 v13, v13, v133
	v_pack_b32_f16 v15, v63, v15
	v_add_u32_e32 v152, 0x400, v150
	ds_write2_b32 v152, v13, v15 offset0:144 offset1:244
	v_lshrrev_b32_e32 v13, 16, v39
	v_lshrrev_b32_e32 v133, 16, v23
	;; [unrolled: 1-line block ×3, first 2 shown]
	v_mul_u32_u24_e32 v60, 0x258, v60
	ds_write2_b32 v150, v159, v163 offset1:100
	s_movk_i32 s21, 0x258
	v_mad_legacy_u16 v56, v56, s21, v57
	v_mad_legacy_u16 v36, v36, s21, v38
	v_mul_f16_sdwa v154, v65, v149 dst_sel:DWORD dst_unused:UNUSED_PAD src0_sel:DWORD src1_sel:WORD_1
	v_mul_f16_sdwa v15, v13, v53 dst_sel:DWORD dst_unused:UNUSED_PAD src0_sel:DWORD src1_sel:WORD_1
	v_fma_f16 v15, v39, v53, -v15
	v_mul_f16_sdwa v39, v39, v53 dst_sel:DWORD dst_unused:UNUSED_PAD src0_sel:DWORD src1_sel:WORD_1
	v_fma_f16 v13, v13, v53, v39
	v_lshrrev_b32_e32 v39, 16, v37
	v_mul_f16_sdwa v63, v39, v55 dst_sel:DWORD dst_unused:UNUSED_PAD src0_sel:DWORD src1_sel:WORD_1
	v_fma_f16 v63, v37, v55, -v63
	v_mul_f16_sdwa v37, v37, v55 dst_sel:DWORD dst_unused:UNUSED_PAD src0_sel:DWORD src1_sel:WORD_1
	v_fma_f16 v37, v39, v55, v37
	v_add_f16_e32 v39, v15, v63
	v_fma_f16 v39, v39, -0.5, v23
	v_add_f16_e32 v23, v23, v15
	v_add_f16_e32 v134, v133, v13
	;; [unrolled: 1-line block ×3, first 2 shown]
	v_sub_f16_e32 v138, v13, v37
	v_add_f16_e32 v13, v13, v37
	v_add_f16_e32 v23, v23, v63
	v_sub_f16_e32 v15, v15, v63
	v_lshrrev_b32_e32 v37, 16, v21
	v_mul_f16_sdwa v63, v21, v52 dst_sel:DWORD dst_unused:UNUSED_PAD src0_sel:DWORD src1_sel:WORD_1
	v_fma_f16 v13, v13, -0.5, v133
	v_fma_f16 v63, v37, v52, v63
	v_lshrrev_b32_e32 v133, 16, v61
	v_mul_f16_sdwa v37, v37, v52 dst_sel:DWORD dst_unused:UNUSED_PAD src0_sel:DWORD src1_sel:WORD_1
	v_fma_f16 v21, v21, v52, -v37
	v_mul_f16_sdwa v37, v133, v54 dst_sel:DWORD dst_unused:UNUSED_PAD src0_sel:DWORD src1_sel:WORD_1
	v_mul_f16_sdwa v139, v61, v54 dst_sel:DWORD dst_unused:UNUSED_PAD src0_sel:DWORD src1_sel:WORD_1
	v_fma_f16 v37, v61, v54, -v37
	v_mul_f16_sdwa v61, v153, v149 dst_sel:DWORD dst_unused:UNUSED_PAD src0_sel:DWORD src1_sel:WORD_1
	v_fma_f16 v139, v133, v54, v139
	v_fma_f16 v154, v153, v149, v154
	v_fma_f16 v61, v65, v149, -v61
	v_add_f16_e32 v155, v63, v139
	v_sub_f16_e32 v158, v139, v154
	v_add_f16_e32 v139, v139, v154
	v_add_f16_e32 v65, v37, v61
	v_fma_f16 v63, v139, -0.5, v63
	v_fma_f16 v65, v65, -0.5, v21
	v_add_f16_e32 v21, v21, v37
	v_sub_f16_e32 v37, v37, v61
	v_fma_f16 v133, v37, s18, v63
	v_add_f16_e32 v21, v21, v61
	v_fma_f16 v61, v158, s17, v65
	v_mul_f16_e32 v139, 0x3aee, v133
	v_add_f16_e32 v155, v155, v154
	v_fma_f16 v139, v61, 0.5, v139
	v_mul_f16_e32 v61, 0xbaee, v61
	v_fma_f16 v61, v133, 0.5, v61
	v_add_lshl_u32 v153, v60, v144, 2
	v_add_f16_e32 v60, v23, v21
	v_add_f16_e32 v133, v134, v155
	v_pack_b32_f16 v60, v60, v133
	v_fma_f16 v133, v138, s17, v39
	v_fma_f16 v144, v15, s18, v13
	v_add_f16_e32 v154, v133, v139
	v_add_f16_e32 v159, v144, v61
	v_pack_b32_f16 v154, v154, v159
	v_fma_f16 v13, v15, s17, v13
	v_fma_f16 v15, v158, s18, v65
	ds_write2_b32 v153, v60, v154 offset1:100
	v_fma_f16 v37, v37, s17, v63
	v_mul_f16_e32 v60, -0.5, v15
	v_fma_f16 v60, v37, s17, v60
	v_mul_f16_e32 v37, -0.5, v37
	v_fma_f16 v39, v138, s18, v39
	v_fma_f16 v15, v15, s18, v37
	v_sub_f16_e32 v21, v23, v21
	v_sub_f16_e32 v23, v134, v155
	v_add_f16_e32 v37, v39, v60
	v_add_f16_e32 v63, v13, v15
	v_pack_b32_f16 v37, v37, v63
	v_pack_b32_f16 v21, v21, v23
	v_add_u32_e32 v154, 0x200, v153
	ds_write2_b32 v154, v37, v21 offset0:72 offset1:172
	v_sub_f16_e32 v21, v133, v139
	v_sub_f16_e32 v23, v39, v60
	v_sub_f16_e32 v37, v144, v61
	v_sub_f16_e32 v13, v13, v15
	v_pack_b32_f16 v15, v21, v37
	v_pack_b32_f16 v13, v23, v13
	v_add_u32_e32 v155, 0x400, v153
	ds_write2_b32 v155, v15, v13 offset0:144 offset1:244
	v_lshrrev_b32_e32 v13, 16, v22
	v_mul_f16_sdwa v21, v22, v48 dst_sel:DWORD dst_unused:UNUSED_PAD src0_sel:DWORD src1_sel:WORD_1
	v_mul_f16_sdwa v15, v13, v48 dst_sel:DWORD dst_unused:UNUSED_PAD src0_sel:DWORD src1_sel:WORD_1
	v_fma_f16 v13, v13, v48, v21
	v_lshrrev_b32_e32 v21, 16, v62
	v_mul_f16_sdwa v23, v62, v50 dst_sel:DWORD dst_unused:UNUSED_PAD src0_sel:DWORD src1_sel:WORD_1
	v_fma_f16 v15, v22, v48, -v15
	v_mul_f16_sdwa v22, v21, v50 dst_sel:DWORD dst_unused:UNUSED_PAD src0_sel:DWORD src1_sel:WORD_1
	v_fma_f16 v21, v21, v50, v23
	v_lshrrev_b32_e32 v23, 16, v66
	v_mul_f16_sdwa v39, v66, v147 dst_sel:DWORD dst_unused:UNUSED_PAD src0_sel:DWORD src1_sel:WORD_1
	v_mul_f16_sdwa v37, v23, v147 dst_sel:DWORD dst_unused:UNUSED_PAD src0_sel:DWORD src1_sel:WORD_1
	v_fma_f16 v23, v23, v147, v39
	v_lshrrev_b32_e32 v39, 16, v69
	v_mul_f16_sdwa v60, v69, v49 dst_sel:DWORD dst_unused:UNUSED_PAD src0_sel:DWORD src1_sel:WORD_1
	v_fma_f16 v22, v62, v50, -v22
	v_fma_f16 v60, v39, v49, v60
	v_lshrrev_b32_e32 v61, 16, v136
	v_mul_f16_sdwa v62, v136, v51 dst_sel:DWORD dst_unused:UNUSED_PAD src0_sel:DWORD src1_sel:WORD_1
	v_lshrrev_b32_e32 v63, 16, v67
	v_mul_f16_sdwa v39, v39, v49 dst_sel:DWORD dst_unused:UNUSED_PAD src0_sel:DWORD src1_sel:WORD_1
	v_fma_f16 v62, v61, v51, v62
	v_add_f16_e32 v65, v63, v60
	v_fma_f16 v39, v69, v49, -v39
	v_mul_f16_sdwa v61, v61, v51 dst_sel:DWORD dst_unused:UNUSED_PAD src0_sel:DWORD src1_sel:WORD_1
	v_fma_f16 v37, v66, v147, -v37
	v_add_f16_e32 v65, v65, v62
	v_sub_f16_e32 v66, v60, v62
	v_add_f16_e32 v60, v60, v62
	v_fma_f16 v61, v136, v51, -v61
	v_add_f16_e32 v62, v67, v39
	v_fma_f16 v60, v60, -0.5, v63
	v_add_f16_e32 v62, v62, v61
	v_add_f16_e32 v63, v39, v61
	v_sub_f16_e32 v39, v39, v61
	v_add_f16_e32 v61, v13, v21
	v_sub_f16_e32 v69, v21, v23
	v_add_f16_e32 v21, v21, v23
	v_fma_f16 v13, v21, -0.5, v13
	v_add_f16_e32 v21, v22, v37
	v_fma_f16 v21, v21, -0.5, v15
	v_add_f16_e32 v15, v15, v22
	v_sub_f16_e32 v22, v22, v37
	v_add_f16_e32 v15, v15, v37
	v_fma_f16 v37, v22, s18, v13
	v_add_f16_e32 v61, v61, v23
	v_fma_f16 v23, v69, s17, v21
	v_mul_f16_e32 v133, 0x3aee, v37
	v_fma_f16 v134, v23, 0.5, v133
	v_mul_f16_e32 v23, 0xbaee, v23
	v_fma_f16 v23, v37, 0.5, v23
	v_mad_legacy_u16 v37, v58, s21, v59
	v_add_f16_e32 v58, v62, v15
	v_add_f16_e32 v59, v65, v61
	v_pack_b32_f16 v58, v58, v59
	v_fma_f16 v59, v63, -0.5, v67
	v_fma_f16 v21, v69, s18, v21
	v_fma_f16 v63, v66, s17, v59
	;; [unrolled: 1-line block ×4, first 2 shown]
	v_mul_f16_e32 v22, -0.5, v21
	v_add_f16_e32 v133, v63, v134
	v_add_f16_e32 v136, v67, v23
	v_fma_f16 v22, v13, s17, v22
	v_mul_f16_e32 v13, -0.5, v13
	v_pack_b32_f16 v133, v133, v136
	v_lshlrev_b32_e32 v139, 2, v37
	v_fma_f16 v37, v66, s18, v59
	v_fma_f16 v39, v39, s17, v60
	;; [unrolled: 1-line block ×3, first 2 shown]
	ds_write2_b32 v139, v58, v133 offset1:100
	v_sub_f16_e32 v15, v62, v15
	v_sub_f16_e32 v21, v65, v61
	v_add_f16_e32 v58, v37, v22
	v_add_f16_e32 v59, v39, v13
	v_pack_b32_f16 v58, v58, v59
	v_pack_b32_f16 v15, v15, v21
	v_add_u32_e32 v133, 0x200, v139
	ds_write2_b32 v133, v58, v15 offset0:72 offset1:172
	v_sub_f16_e32 v15, v63, v134
	v_sub_f16_e32 v21, v37, v22
	;; [unrolled: 1-line block ×4, first 2 shown]
	v_pack_b32_f16 v15, v15, v22
	v_pack_b32_f16 v13, v21, v13
	v_add_u32_e32 v134, 0x400, v139
	ds_write2_b32 v134, v15, v13 offset0:144 offset1:244
	v_lshrrev_b32_e32 v13, 16, v70
	v_mul_f16_sdwa v21, v70, v45 dst_sel:DWORD dst_unused:UNUSED_PAD src0_sel:DWORD src1_sel:WORD_1
	v_mul_f16_sdwa v15, v13, v45 dst_sel:DWORD dst_unused:UNUSED_PAD src0_sel:DWORD src1_sel:WORD_1
	v_fma_f16 v13, v13, v45, v21
	v_lshrrev_b32_e32 v21, 16, v137
	v_mul_f16_sdwa v23, v137, v47 dst_sel:DWORD dst_unused:UNUSED_PAD src0_sel:DWORD src1_sel:WORD_1
	v_fma_f16 v15, v70, v45, -v15
	v_mul_f16_sdwa v22, v21, v47 dst_sel:DWORD dst_unused:UNUSED_PAD src0_sel:DWORD src1_sel:WORD_1
	v_fma_f16 v21, v21, v47, v23
	v_lshrrev_b32_e32 v37, 16, v68
	v_fma_f16 v22, v137, v47, -v22
	v_add_f16_e32 v39, v68, v15
	v_add_f16_e32 v58, v37, v13
	v_sub_f16_e32 v59, v13, v21
	v_add_f16_e32 v13, v13, v21
	v_add_f16_e32 v23, v15, v22
	;; [unrolled: 1-line block ×3, first 2 shown]
	v_fma_f16 v13, v13, -0.5, v37
	v_add_f16_e32 v21, v39, v22
	v_sub_f16_e32 v15, v15, v22
	v_lshrrev_b32_e32 v22, 16, v140
	v_mul_f16_sdwa v37, v140, v44 dst_sel:DWORD dst_unused:UNUSED_PAD src0_sel:DWORD src1_sel:WORD_1
	v_lshrrev_b32_e32 v39, 16, v142
	v_mul_f16_sdwa v60, v142, v46 dst_sel:DWORD dst_unused:UNUSED_PAD src0_sel:DWORD src1_sel:WORD_1
	;; [unrolled: 2-line block ×3, first 2 shown]
	v_fma_f16 v37, v22, v44, v37
	v_fma_f16 v60, v39, v46, v60
	;; [unrolled: 1-line block ×3, first 2 shown]
	v_add_f16_e32 v63, v37, v60
	v_sub_f16_e32 v65, v60, v62
	v_add_f16_e32 v60, v60, v62
	v_fma_f16 v37, v60, -0.5, v37
	v_mul_f16_sdwa v39, v39, v46 dst_sel:DWORD dst_unused:UNUSED_PAD src0_sel:DWORD src1_sel:WORD_1
	v_mul_f16_sdwa v60, v61, v146 dst_sel:DWORD dst_unused:UNUSED_PAD src0_sel:DWORD src1_sel:WORD_1
	v_mul_f16_sdwa v22, v22, v44 dst_sel:DWORD dst_unused:UNUSED_PAD src0_sel:DWORD src1_sel:WORD_1
	v_fma_f16 v39, v142, v46, -v39
	v_fma_f16 v60, v156, v146, -v60
	;; [unrolled: 1-line block ×3, first 2 shown]
	v_add_f16_e32 v61, v39, v60
	v_fma_f16 v61, v61, -0.5, v22
	v_add_f16_e32 v22, v22, v39
	v_sub_f16_e32 v39, v39, v60
	v_add_f16_e32 v63, v63, v62
	v_fma_f16 v62, v39, s18, v37
	v_add_f16_e32 v22, v22, v60
	v_fma_f16 v60, v65, s17, v61
	v_mul_f16_e32 v66, 0x3aee, v62
	v_fma_f16 v67, v15, s18, v13
	v_fma_f16 v13, v15, s17, v13
	;; [unrolled: 1-line block ×3, first 2 shown]
	v_fma_f16 v66, v60, 0.5, v66
	v_mul_f16_e32 v60, 0xbaee, v60
	v_fma_f16 v37, v39, s17, v37
	v_mul_f16_e32 v39, -0.5, v15
	v_fma_f16 v23, v23, -0.5, v68
	v_fma_f16 v60, v62, 0.5, v60
	v_add_f16_e32 v57, v21, v22
	v_add_f16_e32 v62, v58, v63
	v_fma_f16 v39, v37, s17, v39
	v_mul_f16_e32 v37, -0.5, v37
	v_pack_b32_f16 v57, v57, v62
	v_fma_f16 v62, v59, s17, v23
	v_fma_f16 v23, v59, s18, v23
	;; [unrolled: 1-line block ×3, first 2 shown]
	v_lshlrev_b32_e32 v136, 2, v56
	v_sub_f16_e32 v21, v21, v22
	v_sub_f16_e32 v22, v58, v63
	v_add_f16_e32 v37, v23, v39
	v_add_f16_e32 v56, v13, v15
	v_pack_b32_f16 v37, v37, v56
	v_pack_b32_f16 v21, v21, v22
	v_add_u32_e32 v137, 0x200, v136
	ds_write2_b32 v137, v37, v21 offset0:72 offset1:172
	v_sub_f16_e32 v21, v62, v66
	v_sub_f16_e32 v22, v23, v39
	;; [unrolled: 1-line block ×4, first 2 shown]
	v_pack_b32_f16 v15, v21, v23
	v_pack_b32_f16 v13, v22, v13
	v_add_u32_e32 v138, 0x400, v136
	ds_write2_b32 v138, v15, v13 offset0:144 offset1:244
	v_lshrrev_b32_e32 v13, 16, v141
	v_mul_f16_sdwa v21, v141, v40 dst_sel:DWORD dst_unused:UNUSED_PAD src0_sel:DWORD src1_sel:WORD_1
	v_mul_f16_sdwa v15, v13, v40 dst_sel:DWORD dst_unused:UNUSED_PAD src0_sel:DWORD src1_sel:WORD_1
	v_fma_f16 v13, v13, v40, v21
	v_lshrrev_b32_e32 v21, 16, v20
	v_mul_f16_sdwa v22, v21, v41 dst_sel:DWORD dst_unused:UNUSED_PAD src0_sel:DWORD src1_sel:WORD_1
	v_fma_f16 v22, v20, v41, -v22
	v_mul_f16_sdwa v20, v20, v41 dst_sel:DWORD dst_unused:UNUSED_PAD src0_sel:DWORD src1_sel:WORD_1
	v_fma_f16 v20, v21, v41, v20
	v_lshrrev_b32_e32 v21, 16, v143
	v_mul_f16_sdwa v37, v143, v42 dst_sel:DWORD dst_unused:UNUSED_PAD src0_sel:DWORD src1_sel:WORD_1
	v_mul_f16_sdwa v23, v21, v42 dst_sel:DWORD dst_unused:UNUSED_PAD src0_sel:DWORD src1_sel:WORD_1
	v_fma_f16 v21, v21, v42, v37
	v_lshrrev_b32_e32 v37, 16, v14
	v_add_f16_e32 v68, v62, v66
	v_add_f16_e32 v69, v67, v60
	v_mul_f16_sdwa v39, v37, v43 dst_sel:DWORD dst_unused:UNUSED_PAD src0_sel:DWORD src1_sel:WORD_1
	v_pack_b32_f16 v68, v68, v69
	v_fma_f16 v39, v14, v43, -v39
	v_mul_f16_sdwa v14, v14, v43 dst_sel:DWORD dst_unused:UNUSED_PAD src0_sel:DWORD src1_sel:WORD_1
	ds_write2_b32 v136, v57, v68 offset1:100
	v_fma_f16 v14, v37, v43, v14
	v_lshrrev_b32_e32 v37, 16, v157
	v_mul_f16_sdwa v57, v157, v145 dst_sel:DWORD dst_unused:UNUSED_PAD src0_sel:DWORD src1_sel:WORD_1
	v_mul_f16_sdwa v56, v37, v145 dst_sel:DWORD dst_unused:UNUSED_PAD src0_sel:DWORD src1_sel:WORD_1
	v_fma_f16 v37, v37, v145, v57
	v_add_f16_e32 v57, v22, v39
	v_lshrrev_b32_e32 v58, 16, v12
	v_fma_f16 v57, v57, -0.5, v12
	v_add_f16_e32 v12, v12, v22
	v_add_f16_e32 v59, v58, v20
	v_fma_f16 v23, v143, v42, -v23
	v_fma_f16 v56, v157, v145, -v56
	v_add_f16_e32 v59, v59, v14
	v_sub_f16_e32 v60, v20, v14
	v_add_f16_e32 v14, v20, v14
	v_add_f16_e32 v12, v12, v39
	v_sub_f16_e32 v20, v22, v39
	v_add_f16_e32 v22, v13, v21
	v_sub_f16_e32 v39, v21, v37
	v_add_f16_e32 v21, v21, v37
	v_fma_f16 v15, v141, v40, -v15
	v_fma_f16 v13, v21, -0.5, v13
	v_add_f16_e32 v21, v23, v56
	v_fma_f16 v14, v14, -0.5, v58
	v_fma_f16 v21, v21, -0.5, v15
	v_add_f16_e32 v15, v15, v23
	v_sub_f16_e32 v23, v23, v56
	v_fma_f16 v61, v20, s18, v14
	v_fma_f16 v14, v20, s17, v14
	;; [unrolled: 1-line block ×3, first 2 shown]
	v_add_f16_e32 v22, v22, v37
	v_add_f16_e32 v15, v15, v56
	v_fma_f16 v37, v39, s17, v21
	v_fma_f16 v56, v23, s18, v13
	;; [unrolled: 1-line block ×3, first 2 shown]
	v_mul_f16_e32 v21, -0.5, v20
	v_mul_f16_e32 v58, 0x3aee, v56
	v_fma_f16 v21, v13, s17, v21
	v_mul_f16_e32 v13, -0.5, v13
	v_fma_f16 v58, v37, 0.5, v58
	v_mul_f16_e32 v37, 0xbaee, v37
	v_lshlrev_b32_e32 v142, 2, v36
	v_fma_f16 v36, v60, s18, v57
	v_fma_f16 v13, v20, s18, v13
	v_fma_f16 v37, v56, 0.5, v37
	v_add_f16_e32 v38, v12, v15
	v_add_f16_e32 v56, v59, v22
	v_sub_f16_e32 v12, v12, v15
	v_sub_f16_e32 v15, v59, v22
	v_add_f16_e32 v20, v36, v21
	v_add_f16_e32 v22, v14, v13
	v_pack_b32_f16 v20, v20, v22
	v_pack_b32_f16 v12, v12, v15
	v_add_u32_e32 v143, 0x200, v142
	v_add_f16_e32 v63, v61, v37
	ds_write2_b32 v143, v20, v12 offset0:72 offset1:172
	v_sub_f16_e32 v15, v36, v21
	v_sub_f16_e32 v20, v61, v37
	v_mad_u64_u32 v[36:37], s[2:3], v109, 20, s[2:3]
	v_pack_b32_f16 v38, v38, v56
	v_fma_f16 v56, v60, s17, v57
	v_add_f16_e32 v62, v56, v58
	v_sub_f16_e32 v12, v56, v58
	v_sub_f16_e32 v13, v14, v13
	v_pack_b32_f16 v62, v62, v63
	v_pack_b32_f16 v12, v12, v20
	v_pack_b32_f16 v13, v15, v13
	v_add_u32_e32 v144, 0x400, v142
	ds_write2_b32 v142, v38, v62 offset1:100
	ds_write2_b32 v144, v12, v13 offset0:144 offset1:244
	s_waitcnt lgkmcnt(0)
	s_barrier
	global_load_dwordx4 v[20:23], v[36:37], off offset:2360
	s_movk_i32 s2, 0x960
	v_add_co_u32_e32 v38, vcc, s2, v36
	v_addc_co_u32_e32 v39, vcc, 0, v37, vcc
	global_load_dwordx4 v[12:15], v[38:39], off offset:2360
	global_load_dword v140, v[36:37], off offset:2376
	global_load_dword v141, v[38:39], off offset:2376
	s_movk_i32 s2, 0x12c0
	v_add_co_u32_e32 v38, vcc, s2, v36
	ds_read2_b32 v[58:59], v97 offset0:48 offset1:168
	v_addc_co_u32_e32 v39, vcc, 0, v37, vcc
	s_movk_i32 s2, 0x1c20
	v_add_co_u32_e32 v56, vcc, s2, v36
	v_addc_co_u32_e32 v57, vcc, 0, v37, vcc
	s_movk_i32 s2, 0x2580
	v_add_co_u32_e32 v60, vcc, s2, v36
	v_addc_co_u32_e32 v61, vcc, 0, v37, vcc
	s_waitcnt lgkmcnt(0)
	v_lshrrev_b32_e32 v36, 16, v58
	ds_read2_b32 v[69:70], v110 offset0:64 offset1:184
	s_mov_b32 s2, 0xb4f2
	s_mov_b32 s3, 0xba79
	s_waitcnt vmcnt(3)
	v_mul_f16_sdwa v37, v58, v21 dst_sel:DWORD dst_unused:UNUSED_PAD src0_sel:DWORD src1_sel:WORD_1
	v_fma_f16 v62, v36, v21, v37
	v_mul_f16_sdwa v36, v36, v21 dst_sel:DWORD dst_unused:UNUSED_PAD src0_sel:DWORD src1_sel:WORD_1
	v_fma_f16 v63, v58, v21, -v36
	ds_read2_b32 v[36:37], v112 offset0:96 offset1:216
	v_lshrrev_b32_e32 v58, 16, v59
	s_waitcnt vmcnt(2)
	v_mul_f16_sdwa v65, v58, v13 dst_sel:DWORD dst_unused:UNUSED_PAD src0_sel:DWORD src1_sel:WORD_1
	v_fma_f16 v156, v59, v13, -v65
	v_mul_f16_sdwa v59, v59, v13 dst_sel:DWORD dst_unused:UNUSED_PAD src0_sel:DWORD src1_sel:WORD_1
	v_fma_f16 v160, v58, v13, v59
	s_waitcnt lgkmcnt(0)
	v_lshrrev_b32_e32 v58, 16, v36
	v_mul_f16_sdwa v59, v36, v23 dst_sel:DWORD dst_unused:UNUSED_PAD src0_sel:DWORD src1_sel:WORD_1
	v_fma_f16 v65, v58, v23, v59
	v_mul_f16_sdwa v58, v58, v23 dst_sel:DWORD dst_unused:UNUSED_PAD src0_sel:DWORD src1_sel:WORD_1
	v_fma_f16 v36, v36, v23, -v58
	ds_read2_b32 v[58:59], v113 offset1:120
	v_lshrrev_b32_e32 v66, 16, v37
	v_mul_f16_sdwa v67, v66, v15 dst_sel:DWORD dst_unused:UNUSED_PAD src0_sel:DWORD src1_sel:WORD_1
	v_fma_f16 v173, v37, v15, -v67
	v_mul_f16_sdwa v37, v37, v15 dst_sel:DWORD dst_unused:UNUSED_PAD src0_sel:DWORD src1_sel:WORD_1
	v_fma_f16 v174, v66, v15, v37
	v_add_f16_e32 v37, v63, v36
	s_waitcnt lgkmcnt(0)
	v_fma_f16 v37, v37, -0.5, v58
	v_sub_f16_e32 v66, v62, v65
	v_fma_f16 v158, v66, s17, v37
	v_fma_f16 v159, v66, s18, v37
	v_lshrrev_b32_e32 v37, 16, v58
	v_add_f16_e32 v66, v37, v62
	v_add_f16_e32 v161, v66, v65
	v_add_f16_e32 v62, v62, v65
	ds_read2_b32 v[65:66], v99 offset0:96 offset1:216
	ds_read2_b32 v[67:68], v115 offset0:16 offset1:136
	v_add_f16_e32 v58, v58, v63
	v_fma_f16 v37, v62, -0.5, v37
	v_add_f16_e32 v58, v58, v36
	v_sub_f16_e32 v36, v63, v36
	v_fma_f16 v62, v36, s18, v37
	v_fma_f16 v63, v36, s17, v37
	s_waitcnt lgkmcnt(1)
	v_lshrrev_b32_e32 v36, 16, v66
	v_mul_f16_sdwa v37, v66, v20 dst_sel:DWORD dst_unused:UNUSED_PAD src0_sel:DWORD src1_sel:WORD_1
	v_fma_f16 v162, v36, v20, v37
	v_mul_f16_sdwa v36, v36, v20 dst_sel:DWORD dst_unused:UNUSED_PAD src0_sel:DWORD src1_sel:WORD_1
	v_fma_f16 v66, v66, v20, -v36
	s_waitcnt lgkmcnt(0)
	v_lshrrev_b32_e32 v36, 16, v68
	v_mul_f16_sdwa v37, v68, v22 dst_sel:DWORD dst_unused:UNUSED_PAD src0_sel:DWORD src1_sel:WORD_1
	v_fma_f16 v163, v36, v22, v37
	v_mul_f16_sdwa v36, v36, v22 dst_sel:DWORD dst_unused:UNUSED_PAD src0_sel:DWORD src1_sel:WORD_1
	v_fma_f16 v68, v68, v22, -v36
	v_lshrrev_b32_e32 v36, 16, v70
	s_waitcnt vmcnt(1)
	v_mul_f16_sdwa v37, v70, v140 dst_sel:DWORD dst_unused:UNUSED_PAD src0_sel:DWORD src1_sel:WORD_1
	v_fma_f16 v164, v36, v140, v37
	v_mul_f16_sdwa v36, v36, v140 dst_sel:DWORD dst_unused:UNUSED_PAD src0_sel:DWORD src1_sel:WORD_1
	v_fma_f16 v70, v70, v140, -v36
	v_add_f16_e32 v36, v68, v70
	v_fma_f16 v36, v36, -0.5, v66
	v_sub_f16_e32 v37, v163, v164
	v_fma_f16 v165, v37, s17, v36
	v_fma_f16 v166, v37, s18, v36
	global_load_dword v157, v[38:39], off offset:2376
	s_nop 0
	global_load_dwordx4 v[36:39], v[38:39], off offset:2360
	v_add_f16_e32 v167, v162, v163
	v_add_f16_e32 v163, v163, v164
	v_fma_f16 v162, v163, -0.5, v162
	v_add_f16_e32 v66, v66, v68
	v_sub_f16_e32 v68, v68, v70
	v_add_f16_e32 v66, v66, v70
	v_fma_f16 v70, v68, s18, v162
	v_mul_f16_e32 v163, 0xbaee, v165
	v_add_f16_e32 v167, v167, v164
	v_fma_f16 v68, v68, s17, v162
	v_mul_f16_e32 v162, 0x3aee, v70
	v_fma_f16 v70, v70, 0.5, v163
	v_mul_f16_e32 v163, -0.5, v166
	v_fma_f16 v162, v165, 0.5, v162
	v_fma_f16 v163, v68, s17, v163
	v_mul_f16_e32 v68, -0.5, v68
	v_add_f16_e32 v164, v58, v66
	v_sub_f16_e32 v66, v58, v66
	v_sub_f16_e32 v178, v161, v167
	v_fma_f16 v68, v166, s18, v68
	v_add_f16_e32 v58, v158, v162
	v_sub_f16_e32 v175, v158, v162
	v_add_f16_e32 v176, v159, v163
	v_sub_f16_e32 v177, v159, v163
	v_add_f16_e32 v158, v161, v167
	v_add_f16_e32 v159, v62, v70
	v_sub_f16_e32 v70, v62, v70
	v_add_f16_e32 v62, v156, v173
	v_pack_b32_f16 v66, v66, v178
	v_add_f16_e32 v179, v63, v68
	v_sub_f16_e32 v68, v63, v68
	v_fma_f16 v180, v62, -0.5, v59
	v_lshrrev_b32_e32 v181, 16, v59
	v_add_f16_e32 v182, v59, v156
	v_pack_b32_f16 v183, v164, v158
	v_pack_b32_f16 v184, v58, v159
	ds_read2_b32 v[58:59], v118 offset0:80 offset1:200
	ds_read2_b32 v[62:63], v96 offset0:128 offset1:248
	;; [unrolled: 1-line block ×9, first 2 shown]
	ds_write_b32 v113, v66 offset:7200
	v_pack_b32_f16 v66, v175, v70
	ds_write_b32 v113, v66 offset:9600
	v_pack_b32_f16 v66, v177, v68
	ds_write_b32 v113, v66 offset:12000
	s_waitcnt lgkmcnt(11)
	v_lshrrev_b32_e32 v66, 16, v58
	v_mul_f16_sdwa v68, v58, v12 dst_sel:DWORD dst_unused:UNUSED_PAD src0_sel:DWORD src1_sel:WORD_1
	v_fma_f16 v68, v66, v12, v68
	v_mul_f16_sdwa v66, v66, v12 dst_sel:DWORD dst_unused:UNUSED_PAD src0_sel:DWORD src1_sel:WORD_1
	v_fma_f16 v58, v58, v12, -v66
	s_waitcnt lgkmcnt(10)
	v_lshrrev_b32_e32 v66, 16, v62
	v_mul_f16_sdwa v70, v62, v14 dst_sel:DWORD dst_unused:UNUSED_PAD src0_sel:DWORD src1_sel:WORD_1
	v_fma_f16 v70, v66, v14, v70
	v_mul_f16_sdwa v66, v66, v14 dst_sel:DWORD dst_unused:UNUSED_PAD src0_sel:DWORD src1_sel:WORD_1
	v_fma_f16 v62, v62, v14, -v66
	s_waitcnt lgkmcnt(9)
	v_lshrrev_b32_e32 v66, 16, v158
	s_waitcnt vmcnt(2)
	v_mul_f16_sdwa v175, v158, v141 dst_sel:DWORD dst_unused:UNUSED_PAD src0_sel:DWORD src1_sel:WORD_1
	v_pack_b32_f16 v176, v176, v179
	v_fma_f16 v175, v66, v141, v175
	v_mul_f16_sdwa v66, v66, v141 dst_sel:DWORD dst_unused:UNUSED_PAD src0_sel:DWORD src1_sel:WORD_1
	ds_write_b32 v113, v176 offset:4800
	v_fma_f16 v66, v158, v141, -v66
	v_add_f16_e32 v176, v181, v160
	v_add_f16_e32 v177, v58, v62
	;; [unrolled: 1-line block ×9, first 2 shown]
	v_pack_b32_f16 v179, v179, v182
	ds_write_b32 v113, v184 offset:2400
	ds_write2_b32 v113, v183, v179 offset1:120
	v_lshrrev_b32_e32 v179, 16, v59
	v_sub_f16_e32 v156, v156, v173
	s_waitcnt lgkmcnt(11)
	v_lshrrev_b32_e32 v193, 16, v161
	s_waitcnt vmcnt(0)
	v_mul_f16_sdwa v182, v179, v36 dst_sel:DWORD dst_unused:UNUSED_PAD src0_sel:DWORD src1_sel:WORD_1
	v_fma_f16 v182, v59, v36, -v182
	v_mul_f16_sdwa v59, v59, v36 dst_sel:DWORD dst_unused:UNUSED_PAD src0_sel:DWORD src1_sel:WORD_1
	v_fma_f16 v179, v179, v36, v59
	v_lshrrev_b32_e32 v59, 16, v63
	v_mul_f16_sdwa v183, v59, v38 dst_sel:DWORD dst_unused:UNUSED_PAD src0_sel:DWORD src1_sel:WORD_1
	v_fma_f16 v183, v63, v38, -v183
	v_mul_f16_sdwa v63, v63, v38 dst_sel:DWORD dst_unused:UNUSED_PAD src0_sel:DWORD src1_sel:WORD_1
	v_fma_f16 v184, v59, v38, v63
	v_lshrrev_b32_e32 v59, 16, v159
	v_mul_f16_sdwa v63, v59, v157 dst_sel:DWORD dst_unused:UNUSED_PAD src0_sel:DWORD src1_sel:WORD_1
	v_fma_f16 v185, v159, v157, -v63
	v_mul_f16_sdwa v63, v159, v157 dst_sel:DWORD dst_unused:UNUSED_PAD src0_sel:DWORD src1_sel:WORD_1
	v_fma_f16 v186, v59, v157, v63
	v_add_f16_e32 v59, v160, v174
	v_sub_f16_e32 v63, v160, v174
	v_fma_f16 v160, v59, -0.5, v181
	v_add_f16_e32 v59, v62, v66
	v_fma_f16 v173, v59, -0.5, v58
	v_add_f16_e32 v58, v70, v175
	v_fma_f16 v68, v58, -0.5, v68
	v_sub_f16_e32 v62, v62, v66
	v_sub_f16_e32 v174, v70, v175
	v_fma_f16 v59, v62, s18, v68
	v_fma_f16 v58, v174, s17, v173
	v_mul_f16_e32 v66, 0x3aee, v59
	v_fma_f16 v66, v58, 0.5, v66
	v_mul_f16_e32 v58, 0xbaee, v58
	v_fma_f16 v175, v59, 0.5, v58
	v_add_f16_e32 v58, v183, v185
	v_sub_f16_e32 v70, v158, v177
	v_sub_f16_e32 v158, v176, v178
	v_fma_f16 v176, v58, -0.5, v182
	global_load_dword v159, v[56:57], off offset:2376
	s_nop 0
	global_load_dwordx4 v[56:59], v[56:57], off offset:2360
	v_add_f16_e32 v177, v184, v186
	v_fma_f16 v177, v177, -0.5, v179
	v_sub_f16_e32 v187, v183, v185
	v_sub_f16_e32 v178, v184, v186
	v_fma_f16 v188, v187, s18, v177
	v_fma_f16 v181, v178, s17, v176
	v_mul_f16_e32 v189, 0x3aee, v188
	v_fma_f16 v189, v181, 0.5, v189
	v_mul_f16_e32 v181, 0xbaee, v181
	v_pack_b32_f16 v70, v70, v158
	v_fma_f16 v181, v188, 0.5, v181
	v_fma_f16 v188, v63, s17, v180
	v_fma_f16 v190, v156, s18, v160
	ds_write_b32 v113, v70 offset:7680
	s_waitcnt lgkmcnt(11)
	v_lshrrev_b32_e32 v70, 16, v163
	v_mul_f16_sdwa v158, v163, v37 dst_sel:DWORD dst_unused:UNUSED_PAD src0_sel:DWORD src1_sel:WORD_1
	v_add_f16_e32 v191, v188, v66
	v_add_f16_e32 v192, v190, v175
	v_fma_f16 v158, v70, v37, v158
	v_mul_f16_sdwa v70, v70, v37 dst_sel:DWORD dst_unused:UNUSED_PAD src0_sel:DWORD src1_sel:WORD_1
	v_pack_b32_f16 v191, v191, v192
	v_fma_f16 v163, v163, v37, -v70
	s_waitcnt lgkmcnt(10)
	v_lshrrev_b32_e32 v70, 16, v165
	v_mul_f16_sdwa v192, v165, v39 dst_sel:DWORD dst_unused:UNUSED_PAD src0_sel:DWORD src1_sel:WORD_1
	v_fma_f16 v192, v70, v39, v192
	v_mul_f16_sdwa v70, v70, v39 dst_sel:DWORD dst_unused:UNUSED_PAD src0_sel:DWORD src1_sel:WORD_1
	v_fma_f16 v165, v165, v39, -v70
	v_add_f16_e32 v70, v163, v165
	v_fma_f16 v160, v156, s17, v160
	v_fma_f16 v156, v174, s18, v173
	v_fma_f16 v70, v70, -0.5, v161
	v_sub_f16_e32 v195, v158, v192
	v_fma_f16 v62, v62, s17, v68
	v_mul_f16_e32 v68, -0.5, v156
	v_fma_f16 v196, v195, s17, v70
	v_fma_f16 v68, v62, s17, v68
	v_mul_f16_e32 v62, -0.5, v62
	v_fma_f16 v173, v195, s18, v70
	v_fma_f16 v70, v178, s18, v176
	v_add_f16_e32 v194, v158, v192
	v_fma_f16 v62, v156, s18, v62
	v_fma_f16 v156, v187, s17, v177
	v_mul_f16_e32 v176, -0.5, v70
	v_fma_f16 v194, v194, -0.5, v193
	v_sub_f16_e32 v197, v163, v165
	v_fma_f16 v63, v63, s18, v180
	v_fma_f16 v176, v156, s17, v176
	v_mul_f16_e32 v156, -0.5, v156
	v_fma_f16 v174, v197, s17, v194
	v_fma_f16 v177, v70, s18, v156
	v_add_f16_e32 v70, v63, v68
	v_add_f16_e32 v156, v160, v62
	v_pack_b32_f16 v156, v70, v156
	v_add_f16_e32 v70, v173, v176
	v_add_f16_e32 v178, v174, v177
	v_fma_f16 v198, v197, s18, v194
	v_pack_b32_f16 v178, v70, v178
	v_add_u32_e32 v70, 0x1400, v113
	ds_write2_b32 v70, v156, v178 offset0:40 offset1:160
	v_sub_f16_e32 v66, v188, v66
	v_sub_f16_e32 v156, v190, v175
	;; [unrolled: 1-line block ×4, first 2 shown]
	v_pack_b32_f16 v66, v66, v156
	v_pack_b32_f16 v175, v175, v178
	v_add_u32_e32 v156, 0x2600, v113
	v_add_f16_e32 v199, v196, v189
	v_add_f16_e32 v200, v198, v181
	ds_write2_b32 v156, v66, v175 offset0:88 offset1:208
	v_sub_f16_e32 v63, v63, v68
	v_sub_f16_e32 v62, v160, v62
	;; [unrolled: 1-line block ×4, first 2 shown]
	v_pack_b32_f16 v199, v199, v200
	v_pack_b32_f16 v62, v63, v62
	;; [unrolled: 1-line block ×3, first 2 shown]
	v_lshrrev_b32_e32 v66, 16, v164
	ds_write2_b32 v118, v191, v199 offset0:80 offset1:200
	ds_write2_b32 v107, v62, v63 offset0:48 offset1:168
	s_waitcnt vmcnt(0)
	v_mul_f16_sdwa v62, v66, v57 dst_sel:DWORD dst_unused:UNUSED_PAD src0_sel:DWORD src1_sel:WORD_1
	v_fma_f16 v68, v164, v57, -v62
	global_load_dword v160, v[60:61], off offset:2376
	s_nop 0
	global_load_dwordx4 v[60:63], v[60:61], off offset:2360
	v_add_f16_e32 v161, v161, v163
	v_add_f16_e32 v161, v161, v165
	v_add_f16_e32 v158, v193, v158
	v_add_f16_e32 v163, v182, v183
	v_add_f16_e32 v165, v179, v184
	v_add_f16_e32 v158, v158, v192
	v_add_f16_e32 v163, v163, v185
	v_add_f16_e32 v165, v165, v186
	v_add_f16_e32 v175, v161, v163
	v_add_f16_e32 v176, v158, v165
	v_pack_b32_f16 v175, v175, v176
	s_waitcnt lgkmcnt(13)
	v_lshrrev_b32_e32 v176, 16, v167
	v_mul_f16_sdwa v177, v167, v56 dst_sel:DWORD dst_unused:UNUSED_PAD src0_sel:DWORD src1_sel:WORD_1
	v_fma_f16 v177, v176, v56, v177
	v_mul_f16_sdwa v176, v176, v56 dst_sel:DWORD dst_unused:UNUSED_PAD src0_sel:DWORD src1_sel:WORD_1
	v_mul_f16_sdwa v164, v164, v57 dst_sel:DWORD dst_unused:UNUSED_PAD src0_sel:DWORD src1_sel:WORD_1
	v_fma_f16 v167, v167, v56, -v176
	s_waitcnt lgkmcnt(12)
	v_lshrrev_b32_e32 v176, 16, v169
	v_mul_f16_sdwa v178, v169, v58 dst_sel:DWORD dst_unused:UNUSED_PAD src0_sel:DWORD src1_sel:WORD_1
	v_fma_f16 v66, v66, v57, v164
	v_lshrrev_b32_e32 v164, 16, v166
	v_fma_f16 v178, v176, v58, v178
	v_mul_f16_sdwa v176, v176, v58 dst_sel:DWORD dst_unused:UNUSED_PAD src0_sel:DWORD src1_sel:WORD_1
	v_mul_f16_sdwa v173, v164, v59 dst_sel:DWORD dst_unused:UNUSED_PAD src0_sel:DWORD src1_sel:WORD_1
	v_fma_f16 v169, v169, v58, -v176
	s_waitcnt lgkmcnt(11)
	v_lshrrev_b32_e32 v176, 16, v171
	v_mul_f16_sdwa v179, v171, v159 dst_sel:DWORD dst_unused:UNUSED_PAD src0_sel:DWORD src1_sel:WORD_1
	v_fma_f16 v173, v166, v59, -v173
	v_mul_f16_sdwa v166, v166, v59 dst_sel:DWORD dst_unused:UNUSED_PAD src0_sel:DWORD src1_sel:WORD_1
	v_lshrrev_b32_e32 v174, 16, v162
	v_fma_f16 v179, v176, v159, v179
	v_mul_f16_sdwa v176, v176, v159 dst_sel:DWORD dst_unused:UNUSED_PAD src0_sel:DWORD src1_sel:WORD_1
	v_fma_f16 v164, v164, v59, v166
	v_fma_f16 v171, v171, v159, -v176
	v_add_f16_e32 v176, v174, v66
	v_add_f16_e32 v166, v68, v173
	;; [unrolled: 1-line block ×3, first 2 shown]
	v_sub_f16_e32 v161, v161, v163
	v_sub_f16_e32 v163, v66, v164
	v_add_f16_e32 v66, v66, v164
	v_add_f16_e32 v164, v169, v171
	v_fma_f16 v166, v166, -0.5, v162
	v_add_f16_e32 v162, v162, v68
	v_add_f16_e32 v180, v167, v169
	;; [unrolled: 1-line block ×3, first 2 shown]
	v_sub_f16_e32 v158, v158, v165
	v_fma_f16 v164, v164, -0.5, v167
	v_sub_f16_e32 v165, v178, v179
	v_add_f16_e32 v167, v178, v179
	v_add_f16_e32 v162, v162, v173
	;; [unrolled: 1-line block ×4, first 2 shown]
	v_fma_f16 v167, v167, -0.5, v177
	v_sub_f16_e32 v169, v169, v171
	v_fma_f16 v171, v165, s18, v164
	v_add_f16_e32 v182, v162, v180
	v_add_f16_e32 v183, v176, v181
	v_fma_f16 v66, v66, -0.5, v174
	v_sub_f16_e32 v68, v68, v173
	v_fma_f16 v173, v169, s17, v167
	v_mul_f16_e32 v174, -0.5, v171
	v_pack_b32_f16 v182, v182, v183
	v_fma_f16 v174, v173, s17, v174
	v_mul_f16_e32 v173, -0.5, v173
	ds_write2_b32 v119, v175, v182 offset0:112 offset1:232
	v_fma_f16 v171, v171, s18, v173
	v_sub_f16_e32 v173, v176, v181
	v_fma_f16 v175, v163, s18, v166
	v_fma_f16 v176, v68, s17, v66
	v_pack_b32_f16 v161, v161, v158
	v_add_f16_e32 v158, v175, v174
	v_add_f16_e32 v177, v176, v171
	v_sub_f16_e32 v162, v162, v180
	v_pack_b32_f16 v158, v158, v177
	ds_write_b32 v113, v158 offset:6240
	v_pack_b32_f16 v162, v162, v173
	v_add_u32_e32 v158, 0x1e00, v113
	ds_write2_b32 v158, v161, v162 offset0:120 offset1:240
	v_lshrrev_b32_e32 v161, 16, v168
	s_waitcnt vmcnt(0)
	v_mul_f16_sdwa v162, v161, v60 dst_sel:DWORD dst_unused:UNUSED_PAD src0_sel:DWORD src1_sel:WORD_1
	v_fma_f16 v162, v168, v60, -v162
	v_mul_f16_sdwa v168, v168, v60 dst_sel:DWORD dst_unused:UNUSED_PAD src0_sel:DWORD src1_sel:WORD_1
	v_fma_f16 v161, v161, v60, v168
	v_lshrrev_b32_e32 v168, 16, v67
	v_mul_f16_sdwa v173, v168, v61 dst_sel:DWORD dst_unused:UNUSED_PAD src0_sel:DWORD src1_sel:WORD_1
	v_fma_f16 v173, v67, v61, -v173
	v_mul_f16_sdwa v67, v67, v61 dst_sel:DWORD dst_unused:UNUSED_PAD src0_sel:DWORD src1_sel:WORD_1
	v_fma_f16 v67, v168, v61, v67
	v_lshrrev_b32_e32 v168, 16, v170
	;; [unrolled: 5-line block ×3, first 2 shown]
	v_mul_f16_sdwa v178, v170, v63 dst_sel:DWORD dst_unused:UNUSED_PAD src0_sel:DWORD src1_sel:WORD_1
	v_fma_f16 v178, v69, v63, -v178
	v_mul_f16_sdwa v69, v69, v63 dst_sel:DWORD dst_unused:UNUSED_PAD src0_sel:DWORD src1_sel:WORD_1
	v_fma_f16 v66, v68, s18, v66
	v_fma_f16 v68, v165, s17, v164
	;; [unrolled: 1-line block ×4, first 2 shown]
	v_lshrrev_b32_e32 v170, 16, v172
	v_mul_f16_e32 v165, 0x3aee, v164
	v_mul_f16_sdwa v179, v170, v160 dst_sel:DWORD dst_unused:UNUSED_PAD src0_sel:DWORD src1_sel:WORD_1
	v_fma_f16 v165, v68, 0.5, v165
	v_mul_f16_e32 v68, 0xbaee, v68
	v_fma_f16 v179, v172, v160, -v179
	v_mul_f16_sdwa v172, v172, v160 dst_sel:DWORD dst_unused:UNUSED_PAD src0_sel:DWORD src1_sel:WORD_1
	v_fma_f16 v68, v164, 0.5, v68
	v_lshrrev_b32_e32 v169, 16, v65
	v_fma_f16 v170, v170, v160, v172
	v_fma_f16 v163, v163, s17, v166
	v_add_f16_e32 v166, v66, v68
	v_sub_f16_e32 v66, v66, v68
	v_sub_f16_e32 v68, v176, v171
	v_add_f16_e32 v167, v173, v178
	v_add_f16_e32 v171, v169, v67
	v_sub_f16_e32 v172, v67, v69
	v_add_f16_e32 v67, v67, v69
	v_fma_f16 v167, v167, -0.5, v65
	v_add_f16_e32 v65, v65, v173
	v_add_f16_e32 v171, v171, v69
	v_fma_f16 v67, v67, -0.5, v169
	v_sub_f16_e32 v69, v173, v178
	v_add_f16_e32 v169, v161, v168
	v_sub_f16_e32 v173, v168, v170
	v_add_f16_e32 v168, v168, v170
	v_add_f16_e32 v164, v163, v165
	v_sub_f16_e32 v163, v163, v165
	v_fma_f16 v161, v168, -0.5, v161
	v_add_f16_e32 v168, v177, v179
	v_sub_f16_e32 v165, v175, v174
	v_add_f16_e32 v169, v169, v170
	v_fma_f16 v168, v168, -0.5, v162
	v_add_f16_e32 v162, v162, v177
	v_sub_f16_e32 v170, v177, v179
	v_pack_b32_f16 v66, v163, v66
	v_add_f16_e32 v65, v65, v178
	v_add_f16_e32 v162, v162, v179
	v_fma_f16 v175, v170, s18, v161
	ds_write_b32 v113, v66 offset:11040
	v_pack_b32_f16 v66, v165, v68
	v_fma_f16 v174, v173, s17, v168
	v_mul_f16_e32 v176, 0x3aee, v175
	ds_write_b32 v113, v66 offset:13440
	v_add_f16_e32 v66, v65, v162
	v_add_f16_e32 v68, v171, v169
	v_fma_f16 v176, v174, 0.5, v176
	v_mul_f16_e32 v174, 0xbaee, v174
	v_pack_b32_f16 v66, v66, v68
	v_fma_f16 v174, v175, 0.5, v174
	ds_write_b32 v113, v66 offset:1920
	v_fma_f16 v66, v172, s17, v167
	v_fma_f16 v68, v69, s18, v67
	v_add_f16_e32 v163, v66, v176
	v_add_f16_e32 v165, v68, v174
	v_pack_b32_f16 v164, v164, v166
	v_pack_b32_f16 v163, v163, v165
	v_fma_f16 v67, v69, s17, v67
	v_fma_f16 v69, v173, s18, v168
	ds_write2_b32 v117, v164, v163 offset0:64 offset1:184
	v_fma_f16 v161, v170, s17, v161
	v_mul_f16_e32 v164, -0.5, v69
	v_fma_f16 v163, v172, s18, v167
	v_fma_f16 v164, v161, s17, v164
	v_mul_f16_e32 v161, -0.5, v161
	v_fma_f16 v69, v69, s18, v161
	v_sub_f16_e32 v65, v65, v162
	v_add_f16_e32 v161, v163, v164
	v_sub_f16_e32 v162, v163, v164
	v_sub_f16_e32 v163, v171, v169
	;; [unrolled: 1-line block ×4, first 2 shown]
	v_pack_b32_f16 v65, v65, v163
	v_add_f16_e32 v164, v67, v69
	v_sub_f16_e32 v67, v67, v69
	ds_write_b32 v113, v65 offset:9120
	v_pack_b32_f16 v65, v66, v68
	v_pack_b32_f16 v69, v161, v164
	ds_write_b32 v113, v65 offset:11520
	v_pack_b32_f16 v65, v162, v67
	ds_write_b32 v113, v69 offset:6720
	ds_write_b32 v113, v65 offset:13920
	s_waitcnt lgkmcnt(0)
	s_barrier
	global_load_dword v163, v113, s[6:7]
	global_load_dword v65, v113, s[6:7] offset:2400
	global_load_dword v173, v113, s[6:7] offset:2880
	;; [unrolled: 1-line block ×4, first 2 shown]
	v_mov_b32_e32 v66, s7
	v_add_co_u32_e32 v170, vcc, s6, v113
	v_addc_co_u32_e32 v171, vcc, 0, v66, vcc
	v_add_co_u32_e32 v66, vcc, s16, v170
	v_addc_co_u32_e32 v67, vcc, 0, v171, vcc
	global_load_dword v174, v[66:67], off offset:2624
	global_load_dword v175, v[66:67], off offset:1184
	;; [unrolled: 1-line block ×5, first 2 shown]
	v_add_co_u32_e32 v68, vcc, s20, v170
	v_addc_co_u32_e32 v69, vcc, 0, v171, vcc
	global_load_dword v178, v[68:69], off offset:672
	global_load_dword v179, v[68:69], off offset:1152
	ds_read2_b32 v[161:162], v113 offset1:120
	global_load_dword v180, v113, s[6:7] offset:480
	global_load_dword v181, v113, s[6:7] offset:960
	s_waitcnt lgkmcnt(0)
	v_lshrrev_b32_e32 v164, 16, v161
	s_waitcnt vmcnt(13)
	v_mul_f16_sdwa v165, v161, v163 dst_sel:DWORD dst_unused:UNUSED_PAD src0_sel:DWORD src1_sel:WORD_1
	v_fma_f16 v165, v164, v163, v165
	v_mul_f16_sdwa v164, v164, v163 dst_sel:DWORD dst_unused:UNUSED_PAD src0_sel:DWORD src1_sel:WORD_1
	v_fma_f16 v161, v161, v163, -v164
	v_pack_b32_f16 v161, v161, v165
	ds_write_b32 v113, v161
	ds_read2_b32 v[163:164], v119 offset0:112 offset1:232
	global_load_dword v161, v113, s[6:7] offset:3360
	global_load_dword v182, v[66:67], off offset:2144
	s_waitcnt lgkmcnt(0)
	v_lshrrev_b32_e32 v165, 16, v164
	s_waitcnt vmcnt(12)
	v_mul_f16_sdwa v166, v164, v167 dst_sel:DWORD dst_unused:UNUSED_PAD src0_sel:DWORD src1_sel:WORD_1
	v_fma_f16 v168, v165, v167, v166
	v_mul_f16_sdwa v183, v165, v167 dst_sel:DWORD dst_unused:UNUSED_PAD src0_sel:DWORD src1_sel:WORD_1
	ds_read2_b32 v[165:166], v99 offset0:96 offset1:216
	global_load_dword v120, v120, s[6:7]
	s_nop 0
	global_load_dword v184, v113, s[6:7] offset:3840
	v_fma_f16 v164, v164, v167, -v183
	v_pack_b32_f16 v164, v164, v168
	s_movk_i32 s6, 0x1ff
	s_waitcnt lgkmcnt(0)
	v_lshrrev_b32_e32 v167, 16, v165
	s_waitcnt vmcnt(13)
	v_mul_f16_sdwa v168, v165, v169 dst_sel:DWORD dst_unused:UNUSED_PAD src0_sel:DWORD src1_sel:WORD_1
	v_fma_f16 v183, v167, v169, v168
	v_mul_f16_sdwa v185, v167, v169 dst_sel:DWORD dst_unused:UNUSED_PAD src0_sel:DWORD src1_sel:WORD_1
	ds_read2_b32 v[167:168], v117 offset0:64 offset1:184
	v_fma_f16 v165, v165, v169, -v185
	v_pack_b32_f16 v165, v165, v183
	v_add_u32_e32 v169, 0x400, v113
	ds_write2_b32 v169, v164, v165 offset0:104 offset1:224
	ds_read2_b32 v[164:165], v97 offset0:48 offset1:168
	s_waitcnt lgkmcnt(2)
	v_lshrrev_b32_e32 v169, 16, v168
	s_waitcnt vmcnt(9)
	v_mul_f16_sdwa v183, v168, v172 dst_sel:DWORD dst_unused:UNUSED_PAD src0_sel:DWORD src1_sel:WORD_1
	v_fma_f16 v183, v169, v172, v183
	v_mul_f16_sdwa v169, v169, v172 dst_sel:DWORD dst_unused:UNUSED_PAD src0_sel:DWORD src1_sel:WORD_1
	v_fma_f16 v168, v168, v172, -v169
	v_pack_b32_f16 v172, v168, v183
	v_add_co_u32_e32 v168, vcc, s19, v170
	s_waitcnt lgkmcnt(0)
	v_lshrrev_b32_e32 v183, 16, v164
	v_addc_co_u32_e32 v169, vcc, 0, v171, vcc
	global_load_dword v185, v[168:169], off offset:928
	s_waitcnt vmcnt(9)
	v_mul_f16_sdwa v170, v164, v177 dst_sel:DWORD dst_unused:UNUSED_PAD src0_sel:DWORD src1_sel:WORD_1
	v_mul_f16_sdwa v171, v183, v177 dst_sel:DWORD dst_unused:UNUSED_PAD src0_sel:DWORD src1_sel:WORD_1
	v_fma_f16 v170, v183, v177, v170
	v_fma_f16 v164, v164, v177, -v171
	global_load_dword v177, v[168:169], off offset:1408
	v_pack_b32_f16 v164, v164, v170
	ds_read2_b32 v[170:171], v107 offset0:48 offset1:168
	v_add_u32_e32 v183, 0x1000, v113
	ds_write2_b32 v183, v172, v164 offset0:56 offset1:176
	global_load_dword v164, v[68:69], off offset:1632
	global_load_dword v183, v[68:69], off offset:192
	ds_read2_b32 v[68:69], v87 offset0:32 offset1:152
	s_waitcnt lgkmcnt(2)
	v_lshrrev_b32_e32 v172, 16, v171
	s_waitcnt vmcnt(11)
	v_mul_f16_sdwa v186, v171, v178 dst_sel:DWORD dst_unused:UNUSED_PAD src0_sel:DWORD src1_sel:WORD_1
	v_fma_f16 v186, v172, v178, v186
	v_mul_f16_sdwa v172, v172, v178 dst_sel:DWORD dst_unused:UNUSED_PAD src0_sel:DWORD src1_sel:WORD_1
	global_load_dword v187, v[168:169], off offset:3328
	v_fma_f16 v171, v171, v178, -v172
	s_waitcnt lgkmcnt(0)
	v_lshrrev_b32_e32 v172, 16, v68
	s_waitcnt vmcnt(11)
	v_mul_f16_sdwa v178, v68, v179 dst_sel:DWORD dst_unused:UNUSED_PAD src0_sel:DWORD src1_sel:WORD_1
	v_fma_f16 v178, v172, v179, v178
	v_mul_f16_sdwa v172, v172, v179 dst_sel:DWORD dst_unused:UNUSED_PAD src0_sel:DWORD src1_sel:WORD_1
	v_fma_f16 v68, v68, v179, -v172
	v_pack_b32_f16 v171, v171, v186
	v_pack_b32_f16 v68, v68, v178
	global_load_dword v178, v[168:169], off offset:3808
	global_load_dword v186, v[168:169], off offset:2848
	v_add_u32_e32 v172, 0x3200, v113
	ds_write2_b32 v172, v171, v68 offset0:40 offset1:160
	ds_read2_b32 v[171:172], v118 offset0:80 offset1:200
	v_lshrrev_b32_e32 v68, 16, v166
	v_mul_f16_sdwa v179, v68, v65 dst_sel:DWORD dst_unused:UNUSED_PAD src0_sel:DWORD src1_sel:WORD_1
	v_fma_f16 v179, v166, v65, -v179
	v_mul_f16_sdwa v166, v166, v65 dst_sel:DWORD dst_unused:UNUSED_PAD src0_sel:DWORD src1_sel:WORD_1
	v_fma_f16 v65, v68, v65, v166
	s_waitcnt lgkmcnt(0)
	v_lshrrev_b32_e32 v68, 16, v171
	v_mul_f16_sdwa v166, v171, v173 dst_sel:DWORD dst_unused:UNUSED_PAD src0_sel:DWORD src1_sel:WORD_1
	v_fma_f16 v166, v68, v173, v166
	v_mul_f16_sdwa v68, v68, v173 dst_sel:DWORD dst_unused:UNUSED_PAD src0_sel:DWORD src1_sel:WORD_1
	v_fma_f16 v68, v171, v173, -v68
	global_load_dword v171, v[66:67], off offset:3104
	v_pack_b32_f16 v68, v68, v166
	v_pack_b32_f16 v65, v179, v65
	v_add_u32_e32 v166, 0x800, v113
	ds_write2_b32 v166, v65, v68 offset0:88 offset1:208
	v_lshrrev_b32_e32 v65, 16, v172
	s_waitcnt vmcnt(11)
	v_mul_f16_sdwa v68, v65, v161 dst_sel:DWORD dst_unused:UNUSED_PAD src0_sel:DWORD src1_sel:WORD_1
	v_fma_f16 v68, v172, v161, -v68
	v_mul_f16_sdwa v166, v172, v161 dst_sel:DWORD dst_unused:UNUSED_PAD src0_sel:DWORD src1_sel:WORD_1
	global_load_dword v172, v[66:67], off offset:4064
	global_load_dword v173, v[168:169], off offset:2368
	;; [unrolled: 1-line block ×3, first 2 shown]
	s_nop 0
	global_load_dword v169, v[168:169], off offset:448
	v_fma_f16 v67, v65, v161, v166
	v_lshrrev_b32_e32 v161, 16, v167
	v_pack_b32_f16 v67, v68, v67
	s_movk_i32 s7, 0xffe
	s_waitcnt vmcnt(12)
	v_mul_f16_sdwa v65, v161, v184 dst_sel:DWORD dst_unused:UNUSED_PAD src0_sel:DWORD src1_sel:WORD_1
	v_fma_f16 v166, v167, v184, -v65
	v_mul_f16_sdwa v167, v167, v184 dst_sel:DWORD dst_unused:UNUSED_PAD src0_sel:DWORD src1_sel:WORD_1
	ds_read2_b32 v[65:66], v116 offset0:32 offset1:152
	v_fma_f16 v161, v161, v184, v167
	v_pack_b32_f16 v68, v166, v161
	ds_write2_b32 v122, v67, v68 offset0:72 offset1:192
	ds_read2_b32 v[67:68], v115 offset0:16 offset1:136
	s_waitcnt lgkmcnt(2)
	v_lshrrev_b32_e32 v122, 16, v66
	v_mul_f16_sdwa v161, v66, v182 dst_sel:DWORD dst_unused:UNUSED_PAD src0_sel:DWORD src1_sel:WORD_1
	v_fma_f16 v161, v122, v182, v161
	v_mul_f16_sdwa v122, v122, v182 dst_sel:DWORD dst_unused:UNUSED_PAD src0_sel:DWORD src1_sel:WORD_1
	v_fma_f16 v66, v66, v182, -v122
	v_pack_b32_f16 v66, v66, v161
	s_waitcnt lgkmcnt(0)
	v_lshrrev_b32_e32 v122, 16, v67
	v_mul_f16_sdwa v161, v67, v174 dst_sel:DWORD dst_unused:UNUSED_PAD src0_sel:DWORD src1_sel:WORD_1
	v_fma_f16 v161, v122, v174, v161
	ds_read2_b32 v[166:167], v114 offset0:112 offset1:232
	v_mul_f16_sdwa v122, v122, v174 dst_sel:DWORD dst_unused:UNUSED_PAD src0_sel:DWORD src1_sel:WORD_1
	v_fma_f16 v67, v67, v174, -v122
	v_pack_b32_f16 v67, v67, v161
	ds_write2_b32 v123, v66, v67 offset0:24 offset1:144
	ds_read2_b32 v[66:67], v112 offset0:96 offset1:216
	s_waitcnt lgkmcnt(2)
	v_lshrrev_b32_e32 v122, 16, v167
	s_waitcnt vmcnt(11)
	v_mul_f16_sdwa v123, v167, v185 dst_sel:DWORD dst_unused:UNUSED_PAD src0_sel:DWORD src1_sel:WORD_1
	v_fma_f16 v123, v122, v185, v123
	v_mul_f16_sdwa v122, v122, v185 dst_sel:DWORD dst_unused:UNUSED_PAD src0_sel:DWORD src1_sel:WORD_1
	v_fma_f16 v122, v167, v185, -v122
	v_pack_b32_f16 v161, v122, v123
	s_waitcnt lgkmcnt(0)
	v_lshrrev_b32_e32 v167, 16, v66
	s_waitcnt vmcnt(10)
	v_mul_f16_sdwa v122, v66, v177 dst_sel:DWORD dst_unused:UNUSED_PAD src0_sel:DWORD src1_sel:WORD_1
	v_fma_f16 v168, v167, v177, v122
	ds_read2_b32 v[122:123], v110 offset0:64 offset1:184
	v_mul_f16_sdwa v167, v167, v177 dst_sel:DWORD dst_unused:UNUSED_PAD src0_sel:DWORD src1_sel:WORD_1
	v_fma_f16 v66, v66, v177, -v167
	v_pack_b32_f16 v66, v66, v168
	ds_read2_b32 v[167:168], v93 offset0:80 offset1:200
	ds_write2_b32 v124, v161, v66 offset0:104 offset1:224
	s_waitcnt lgkmcnt(2)
	v_lshrrev_b32_e32 v66, 16, v122
	s_waitcnt vmcnt(8)
	v_mul_f16_sdwa v161, v170, v183 dst_sel:DWORD dst_unused:UNUSED_PAD src0_sel:DWORD src1_sel:WORD_1
	s_waitcnt vmcnt(7)
	v_mul_f16_sdwa v124, v122, v187 dst_sel:DWORD dst_unused:UNUSED_PAD src0_sel:DWORD src1_sel:WORD_1
	v_fma_f16 v124, v66, v187, v124
	v_mul_f16_sdwa v66, v66, v187 dst_sel:DWORD dst_unused:UNUSED_PAD src0_sel:DWORD src1_sel:WORD_1
	v_fma_f16 v66, v122, v187, -v66
	v_pack_b32_f16 v66, v66, v124
	s_waitcnt lgkmcnt(1)
	v_lshrrev_b32_e32 v122, 16, v168
	s_waitcnt vmcnt(5)
	v_mul_f16_sdwa v124, v168, v186 dst_sel:DWORD dst_unused:UNUSED_PAD src0_sel:DWORD src1_sel:WORD_1
	v_fma_f16 v124, v122, v186, v124
	v_mul_f16_sdwa v122, v122, v186 dst_sel:DWORD dst_unused:UNUSED_PAD src0_sel:DWORD src1_sel:WORD_1
	v_fma_f16 v122, v168, v186, -v122
	v_pack_b32_f16 v122, v122, v124
	v_add_u32_e32 v124, 0x2a00, v113
	ds_write2_b32 v124, v122, v66 offset0:72 offset1:192
	v_lshrrev_b32_e32 v66, 16, v123
	v_mul_f16_sdwa v122, v66, v178 dst_sel:DWORD dst_unused:UNUSED_PAD src0_sel:DWORD src1_sel:WORD_1
	v_fma_f16 v122, v123, v178, -v122
	v_mul_f16_sdwa v123, v123, v178 dst_sel:DWORD dst_unused:UNUSED_PAD src0_sel:DWORD src1_sel:WORD_1
	v_fma_f16 v66, v66, v178, v123
	v_lshrrev_b32_e32 v123, 16, v170
	v_mul_f16_sdwa v124, v123, v183 dst_sel:DWORD dst_unused:UNUSED_PAD src0_sel:DWORD src1_sel:WORD_1
	v_fma_f16 v124, v170, v183, -v124
	v_fma_f16 v123, v123, v183, v161
	v_pack_b32_f16 v66, v122, v66
	v_pack_b32_f16 v122, v124, v123
	ds_write2_b32 v121, v66, v122 offset0:56 offset1:176
	v_lshrrev_b32_e32 v66, 16, v65
	v_mul_f16_sdwa v121, v66, v176 dst_sel:DWORD dst_unused:UNUSED_PAD src0_sel:DWORD src1_sel:WORD_1
	v_fma_f16 v121, v65, v176, -v121
	v_mul_f16_sdwa v65, v65, v176 dst_sel:DWORD dst_unused:UNUSED_PAD src0_sel:DWORD src1_sel:WORD_1
	v_fma_f16 v122, v66, v176, v65
	v_lshrrev_b32_e32 v65, 16, v68
	s_waitcnt vmcnt(4)
	v_mul_f16_sdwa v66, v65, v171 dst_sel:DWORD dst_unused:UNUSED_PAD src0_sel:DWORD src1_sel:WORD_1
	v_fma_f16 v123, v68, v171, -v66
	v_mul_f16_sdwa v66, v68, v171 dst_sel:DWORD dst_unused:UNUSED_PAD src0_sel:DWORD src1_sel:WORD_1
	v_fma_f16 v68, v65, v171, v66
	v_lshrrev_b32_e32 v65, 16, v166
	s_waitcnt vmcnt(0)
	v_mul_f16_sdwa v66, v65, v169 dst_sel:DWORD dst_unused:UNUSED_PAD src0_sel:DWORD src1_sel:WORD_1
	v_fma_f16 v124, v166, v169, -v66
	v_mul_f16_sdwa v66, v166, v169 dst_sel:DWORD dst_unused:UNUSED_PAD src0_sel:DWORD src1_sel:WORD_1
	v_fma_f16 v161, v65, v169, v66
	v_lshrrev_b32_e32 v65, 16, v67
	v_mul_f16_sdwa v66, v65, v179 dst_sel:DWORD dst_unused:UNUSED_PAD src0_sel:DWORD src1_sel:WORD_1
	v_fma_f16 v166, v67, v179, -v66
	v_mul_f16_sdwa v66, v67, v179 dst_sel:DWORD dst_unused:UNUSED_PAD src0_sel:DWORD src1_sel:WORD_1
	v_fma_f16 v67, v65, v179, v66
	ds_read2_b32 v[65:66], v96 offset0:128 offset1:248
	v_lshrrev_b32_e32 v168, 16, v162
	v_mul_f16_sdwa v169, v168, v180 dst_sel:DWORD dst_unused:UNUSED_PAD src0_sel:DWORD src1_sel:WORD_1
	v_fma_f16 v169, v162, v180, -v169
	v_mul_f16_sdwa v162, v162, v180 dst_sel:DWORD dst_unused:UNUSED_PAD src0_sel:DWORD src1_sel:WORD_1
	v_fma_f16 v162, v168, v180, v162
	v_pack_b32_f16 v68, v123, v68
	s_waitcnt lgkmcnt(0)
	v_lshrrev_b32_e32 v123, 16, v65
	v_mul_f16_sdwa v168, v65, v120 dst_sel:DWORD dst_unused:UNUSED_PAD src0_sel:DWORD src1_sel:WORD_1
	v_fma_f16 v168, v123, v120, v168
	v_mul_f16_sdwa v123, v123, v120 dst_sel:DWORD dst_unused:UNUSED_PAD src0_sel:DWORD src1_sel:WORD_1
	v_fma_f16 v65, v65, v120, -v123
	v_pack_b32_f16 v65, v65, v168
	ds_write2_b32 v96, v68, v65 offset0:8 offset1:128
	v_lshrrev_b32_e32 v65, 16, v167
	v_mul_f16_sdwa v68, v65, v173 dst_sel:DWORD dst_unused:UNUSED_PAD src0_sel:DWORD src1_sel:WORD_1
	v_mul_f16_sdwa v120, v167, v173 dst_sel:DWORD dst_unused:UNUSED_PAD src0_sel:DWORD src1_sel:WORD_1
	v_fma_f16 v68, v167, v173, -v68
	v_fma_f16 v65, v65, v173, v120
	v_pack_b32_f16 v67, v166, v67
	v_pack_b32_f16 v65, v68, v65
	ds_write2_b32 v156, v67, v65 offset0:88 offset1:208
	v_lshrrev_b32_e32 v65, 16, v163
	v_mul_f16_sdwa v67, v65, v181 dst_sel:DWORD dst_unused:UNUSED_PAD src0_sel:DWORD src1_sel:WORD_1
	v_mul_f16_sdwa v68, v163, v181 dst_sel:DWORD dst_unused:UNUSED_PAD src0_sel:DWORD src1_sel:WORD_1
	v_fma_f16 v67, v163, v181, -v67
	v_fma_f16 v65, v65, v181, v68
	v_pack_b32_f16 v68, v169, v162
	;; [unrolled: 8-line block ×3, first 2 shown]
	v_pack_b32_f16 v65, v67, v65
	ds_write2_b32 v70, v65, v68 offset0:40 offset1:160
	v_lshrrev_b32_e32 v65, 16, v66
	v_mul_f16_sdwa v67, v65, v172 dst_sel:DWORD dst_unused:UNUSED_PAD src0_sel:DWORD src1_sel:WORD_1
	v_fma_f16 v67, v66, v172, -v67
	v_mul_f16_sdwa v66, v66, v172 dst_sel:DWORD dst_unused:UNUSED_PAD src0_sel:DWORD src1_sel:WORD_1
	v_fma_f16 v65, v65, v172, v66
	v_pack_b32_f16 v66, v124, v161
	v_pack_b32_f16 v65, v67, v65
	ds_write2_b32 v158, v65, v66 offset0:120 offset1:240
	v_lshrrev_b32_e32 v65, 16, v69
	v_mul_f16_sdwa v66, v65, v164 dst_sel:DWORD dst_unused:UNUSED_PAD src0_sel:DWORD src1_sel:WORD_1
	v_mul_f16_sdwa v67, v69, v164 dst_sel:DWORD dst_unused:UNUSED_PAD src0_sel:DWORD src1_sel:WORD_1
	v_fma_f16 v66, v69, v164, -v66
	v_fma_f16 v65, v65, v164, v67
	v_pack_b32_f16 v65, v66, v65
	ds_write_b32 v113, v65 offset:13920
	s_waitcnt lgkmcnt(0)
	s_barrier
	ds_read2_b32 v[65:66], v114 offset0:112 offset1:232
	ds_read2_b32 v[67:68], v110 offset0:64 offset1:184
	;; [unrolled: 1-line block ×4, first 2 shown]
	ds_read2_b32 v[161:162], v113 offset1:120
	s_waitcnt lgkmcnt(3)
	v_sub_f16_e32 v69, v65, v67
	s_waitcnt lgkmcnt(2)
	v_sub_f16_sdwa v187, v120, v67 dst_sel:DWORD dst_unused:UNUSED_PAD src0_sel:WORD_1 src1_sel:WORD_1
	s_waitcnt lgkmcnt(1)
	v_sub_f16_e32 v124, v122, v120
	v_add_f16_e32 v69, v124, v69
	v_add_f16_e32 v124, v120, v67
	s_waitcnt lgkmcnt(0)
	v_fma_f16 v124, v124, -0.5, v161
	v_sub_f16_sdwa v188, v122, v65 dst_sel:DWORD dst_unused:UNUSED_PAD src0_sel:WORD_1 src1_sel:WORD_1
	v_fma_f16 v163, v188, s1, v124
	v_fma_f16 v124, v188, s13, v124
	;; [unrolled: 1-line block ×6, first 2 shown]
	v_sub_f16_sdwa v124, v122, v120 dst_sel:DWORD dst_unused:UNUSED_PAD src0_sel:WORD_1 src1_sel:WORD_1
	v_sub_f16_sdwa v163, v65, v67 dst_sel:DWORD dst_unused:UNUSED_PAD src0_sel:WORD_1 src1_sel:WORD_1
	v_add_f16_e32 v124, v124, v163
	v_lshrrev_b32_e32 v175, 16, v161
	v_add_f16_sdwa v163, v120, v67 dst_sel:DWORD dst_unused:UNUSED_PAD src0_sel:WORD_1 src1_sel:WORD_1
	v_fma_f16 v163, v163, -0.5, v175
	v_sub_f16_e32 v191, v122, v65
	v_sub_f16_e32 v190, v120, v67
	v_fma_f16 v164, v191, s13, v163
	v_fma_f16 v164, v190, s0, v164
	;; [unrolled: 1-line block ×4, first 2 shown]
	ds_read2_b32 v[163:164], v112 offset0:96 offset1:216
	ds_read2_b32 v[165:166], v107 offset0:48 offset1:168
	;; [unrolled: 1-line block ×4, first 2 shown]
	v_fma_f16 v171, v190, s14, v171
	v_fma_f16 v124, v124, s12, v171
	ds_read2_b32 v[171:172], v119 offset0:112 offset1:232
	s_waitcnt lgkmcnt(3)
	v_sub_f16_e32 v173, v164, v166
	s_waitcnt lgkmcnt(1)
	v_sub_f16_e32 v174, v170, v168
	v_add_f16_e32 v173, v174, v173
	v_add_f16_e32 v174, v168, v166
	s_waitcnt lgkmcnt(0)
	v_fma_f16 v174, v174, -0.5, v172
	v_sub_f16_sdwa v194, v170, v164 dst_sel:DWORD dst_unused:UNUSED_PAD src0_sel:WORD_1 src1_sel:WORD_1
	v_sub_f16_sdwa v193, v168, v166 dst_sel:DWORD dst_unused:UNUSED_PAD src0_sel:WORD_1 src1_sel:WORD_1
	v_fma_f16 v176, v194, s1, v174
	v_fma_f16 v174, v194, s13, v174
	;; [unrolled: 1-line block ×6, first 2 shown]
	v_sub_f16_sdwa v174, v170, v168 dst_sel:DWORD dst_unused:UNUSED_PAD src0_sel:WORD_1 src1_sel:WORD_1
	v_sub_f16_sdwa v177, v164, v166 dst_sel:DWORD dst_unused:UNUSED_PAD src0_sel:WORD_1 src1_sel:WORD_1
	v_add_f16_e32 v174, v174, v177
	v_lshrrev_b32_e32 v177, 16, v172
	v_add_f16_sdwa v178, v168, v166 dst_sel:DWORD dst_unused:UNUSED_PAD src0_sel:WORD_1 src1_sel:WORD_1
	v_fma_f16 v178, v178, -0.5, v177
	v_sub_f16_e32 v196, v170, v164
	v_sub_f16_e32 v195, v168, v166
	v_fma_f16 v179, v196, s13, v178
	v_fma_f16 v179, v195, s0, v179
	;; [unrolled: 1-line block ×6, first 2 shown]
	v_mul_f16_e32 v178, 0xbb9c, v179
	v_fma_f16 v197, v176, s12, v178
	v_mul_f16_e32 v178, 0x34f2, v179
	v_fma_f16 v198, v176, s1, v178
	v_mul_f16_e32 v176, 0xbb9c, v174
	v_mul_f16_e32 v174, 0xb4f2, v174
	v_fma_f16 v199, v173, s2, v176
	v_fma_f16 v200, v173, s1, v174
	v_add_f16_e32 v173, v69, v199
	v_add_f16_e32 v174, v124, v200
	v_pack_b32_f16 v174, v173, v174
	v_add_f16_e32 v173, v189, v197
	v_add_f16_e32 v176, v192, v198
	v_pack_b32_f16 v173, v173, v176
	v_sub_f16_e32 v176, v67, v65
	v_sub_f16_e32 v178, v120, v122
	v_add_f16_e32 v201, v178, v176
	v_add_f16_sdwa v176, v122, v65 dst_sel:DWORD dst_unused:UNUSED_PAD src0_sel:WORD_1 src1_sel:WORD_1
	v_fma_f16 v202, v176, -0.5, v175
	v_sub_f16_sdwa v175, v120, v122 dst_sel:DWORD dst_unused:UNUSED_PAD src0_sel:WORD_1 src1_sel:WORD_1
	v_sub_f16_sdwa v176, v67, v65 dst_sel:DWORD dst_unused:UNUSED_PAD src0_sel:WORD_1 src1_sel:WORD_1
	v_add_f16_e32 v203, v175, v176
	v_sub_f16_e32 v175, v166, v164
	v_sub_f16_e32 v176, v168, v170
	v_add_f16_e32 v204, v176, v175
	v_add_f16_sdwa v175, v170, v164 dst_sel:DWORD dst_unused:UNUSED_PAD src0_sel:WORD_1 src1_sel:WORD_1
	v_fma_f16 v205, v175, -0.5, v177
	v_sub_f16_sdwa v175, v168, v170 dst_sel:DWORD dst_unused:UNUSED_PAD src0_sel:WORD_1 src1_sel:WORD_1
	v_sub_f16_sdwa v176, v166, v164 dst_sel:DWORD dst_unused:UNUSED_PAD src0_sel:WORD_1 src1_sel:WORD_1
	v_add_f16_e32 v206, v175, v176
	v_add_f16_e32 v175, v170, v164
	v_fma_f16 v207, v175, -0.5, v172
	v_fma_f16 v176, v195, s1, v205
	v_fma_f16 v175, v193, s13, v207
	;; [unrolled: 1-line block ×6, first 2 shown]
	v_mul_f16_e32 v177, 0xb8b4, v176
	v_fma_f16 v208, v175, s15, v177
	v_mul_f16_e32 v175, 0x38b4, v175
	v_pk_add_f16 v120, v161, v120
	v_fma_f16 v209, v176, s15, v175
	v_add_f16_e32 v175, v122, v65
	v_pk_add_f16 v120, v120, v122
	v_fma_f16 v210, v175, -0.5, v161
	v_pk_add_f16 v65, v120, v65
	v_fma_f16 v175, v187, s13, v210
	v_pk_add_f16 v65, v65, v67
	v_fma_f16 v67, v190, s1, v202
	;; [unrolled: 2-line block ×3, first 2 shown]
	v_fma_f16 v67, v191, s0, v67
	v_pk_add_f16 v120, v120, v170
	v_fma_f16 v211, v201, s12, v175
	v_fma_f16 v67, v203, s12, v67
	v_pk_add_f16 v120, v120, v164
	v_pk_add_f16 v120, v120, v166
	v_add_f16_e32 v122, v211, v208
	v_add_f16_e32 v161, v67, v209
	v_pack_b32_f16 v176, v122, v161
	v_pk_add_f16 v175, v65, v120
	v_sub_f16_e32 v161, v189, v197
	v_sub_f16_e32 v164, v192, v198
	ds_read2_b32 v[177:178], v99 offset0:96 offset1:216
	ds_read2_b32 v[179:180], v97 offset0:48 offset1:168
	;; [unrolled: 1-line block ×5, first 2 shown]
	s_waitcnt lgkmcnt(0)
	s_barrier
	ds_write2_b64 v129, v[175:176], v[173:174] offset1:1
	v_pack_b32_f16 v173, v161, v164
	v_fma_f16 v164, v195, s13, v205
	v_sub_f16_e32 v122, v211, v208
	v_sub_f16_e32 v67, v67, v209
	v_fma_f16 v161, v193, s1, v207
	v_fma_f16 v164, v196, s14, v164
	v_pack_b32_f16 v172, v122, v67
	v_fma_f16 v67, v187, s1, v210
	v_fma_f16 v122, v190, s13, v202
	;; [unrolled: 1-line block ×7, first 2 shown]
	v_mul_f16_e32 v166, 0xb8b4, v164
	v_mul_f16_e32 v164, 0xba79, v164
	v_fma_f16 v67, v201, s12, v67
	v_fma_f16 v122, v203, s12, v122
	;; [unrolled: 1-line block ×4, first 2 shown]
	v_pk_add_f16 v175, v65, v120 neg_lo:[0,1] neg_hi:[0,1]
	v_add_f16_e32 v65, v67, v166
	v_add_f16_e32 v120, v122, v161
	v_pack_b32_f16 v174, v65, v120
	v_sub_f16_e32 v65, v69, v199
	v_sub_f16_e32 v69, v124, v200
	ds_write2_b64 v129, v[174:175], v[172:173] offset0:2 offset1:3
	v_pack_b32_f16 v172, v65, v69
	v_pk_add_f16 v65, v162, v121
	v_sub_f16_e32 v67, v67, v166
	v_sub_f16_e32 v120, v122, v161
	v_pk_add_f16 v65, v65, v123
	v_pack_b32_f16 v173, v67, v120
	v_add_f16_e32 v166, v121, v68
	v_pk_add_f16 v65, v65, v66
	ds_write_b64 v129, v[172:173] offset:32
	v_add_f16_e32 v67, v123, v66
	v_sub_f16_sdwa v69, v123, v66 dst_sel:DWORD dst_unused:UNUSED_PAD src0_sel:WORD_1 src1_sel:WORD_1
	v_sub_f16_e32 v120, v121, v123
	v_sub_f16_e32 v122, v123, v121
	v_add_f16_sdwa v124, v123, v66 dst_sel:DWORD dst_unused:UNUSED_PAD src0_sel:WORD_1 src1_sel:WORD_1
	v_sub_f16_e32 v129, v123, v66
	v_sub_f16_sdwa v161, v121, v123 dst_sel:DWORD dst_unused:UNUSED_PAD src0_sel:WORD_1 src1_sel:WORD_1
	v_sub_f16_sdwa v123, v123, v121 dst_sel:DWORD dst_unused:UNUSED_PAD src0_sel:WORD_1 src1_sel:WORD_1
	;; [unrolled: 1-line block ×3, first 2 shown]
	v_sub_f16_e32 v168, v121, v68
	v_add_f16_sdwa v121, v121, v68 dst_sel:DWORD dst_unused:UNUSED_PAD src0_sel:WORD_1 src1_sel:WORD_1
	v_sub_f16_e32 v170, v68, v66
	v_sub_f16_e32 v172, v66, v68
	v_sub_f16_sdwa v173, v68, v66 dst_sel:DWORD dst_unused:UNUSED_PAD src0_sel:WORD_1 src1_sel:WORD_1
	v_sub_f16_sdwa v66, v66, v68 dst_sel:DWORD dst_unused:UNUSED_PAD src0_sel:WORD_1 src1_sel:WORD_1
	v_pk_add_f16 v174, v65, v68
	v_fma_f16 v68, v166, -0.5, v162
	v_add_f16_e32 v65, v122, v172
	v_fma_f16 v122, v69, s1, v68
	v_fma_f16 v68, v69, s13, v68
	;; [unrolled: 1-line block ×4, first 2 shown]
	v_fma_f16 v172, v67, -0.5, v162
	v_lshrrev_b32_e32 v67, 16, v162
	v_fma_f16 v122, v65, s12, v122
	v_fma_f16 v166, v65, s12, v68
	v_add_f16_e32 v65, v123, v66
	v_fma_f16 v66, v121, -0.5, v67
	v_fma_f16 v68, v129, s13, v66
	v_fma_f16 v66, v129, s1, v66
	;; [unrolled: 1-line block ×6, first 2 shown]
	v_sub_f16_e32 v65, v183, v185
	v_sub_f16_e32 v66, v181, v179
	v_add_f16_e32 v65, v66, v65
	v_add_f16_e32 v66, v179, v185
	v_fma_f16 v66, v66, -0.5, v177
	v_sub_f16_sdwa v175, v181, v183 dst_sel:DWORD dst_unused:UNUSED_PAD src0_sel:WORD_1 src1_sel:WORD_1
	v_sub_f16_sdwa v162, v179, v185 dst_sel:DWORD dst_unused:UNUSED_PAD src0_sel:WORD_1 src1_sel:WORD_1
	v_fma_f16 v68, v175, s1, v66
	v_fma_f16 v66, v175, s13, v66
	;; [unrolled: 1-line block ×6, first 2 shown]
	v_sub_f16_sdwa v66, v181, v179 dst_sel:DWORD dst_unused:UNUSED_PAD src0_sel:WORD_1 src1_sel:WORD_1
	v_sub_f16_sdwa v176, v183, v185 dst_sel:DWORD dst_unused:UNUSED_PAD src0_sel:WORD_1 src1_sel:WORD_1
	v_add_f16_e32 v66, v66, v176
	v_lshrrev_b32_e32 v176, 16, v177
	v_add_f16_sdwa v187, v179, v185 dst_sel:DWORD dst_unused:UNUSED_PAD src0_sel:WORD_1 src1_sel:WORD_1
	v_fma_f16 v187, v187, -0.5, v176
	v_sub_f16_e32 v189, v181, v183
	v_sub_f16_e32 v188, v179, v185
	v_fma_f16 v190, v189, s13, v187
	v_fma_f16 v190, v188, s0, v190
	;; [unrolled: 1-line block ×6, first 2 shown]
	v_mul_f16_e32 v187, 0xbb9c, v190
	v_mul_f16_e32 v190, 0x34f2, v190
	v_fma_f16 v187, v68, s12, v187
	v_fma_f16 v190, v68, s1, v190
	v_mul_f16_e32 v68, 0xbb9c, v66
	v_mul_f16_e32 v66, 0xb4f2, v66
	v_fma_f16 v191, v65, s2, v68
	v_fma_f16 v192, v65, s1, v66
	v_add_f16_e32 v65, v166, v191
	v_add_f16_e32 v66, v123, v192
	v_pack_b32_f16 v66, v65, v66
	v_add_f16_e32 v65, v122, v187
	v_add_f16_e32 v68, v121, v190
	v_pack_b32_f16 v65, v65, v68
	v_fma_f16 v124, v124, -0.5, v67
	v_sub_f16_e32 v67, v185, v183
	v_sub_f16_e32 v68, v179, v181
	v_add_f16_e32 v120, v120, v170
	v_add_f16_e32 v170, v68, v67
	v_add_f16_sdwa v67, v181, v183 dst_sel:DWORD dst_unused:UNUSED_PAD src0_sel:WORD_1 src1_sel:WORD_1
	v_add_f16_e32 v161, v161, v173
	v_fma_f16 v173, v67, -0.5, v176
	v_sub_f16_sdwa v67, v179, v181 dst_sel:DWORD dst_unused:UNUSED_PAD src0_sel:WORD_1 src1_sel:WORD_1
	v_sub_f16_sdwa v68, v185, v183 dst_sel:DWORD dst_unused:UNUSED_PAD src0_sel:WORD_1 src1_sel:WORD_1
	v_add_f16_e32 v176, v67, v68
	v_add_f16_e32 v67, v181, v183
	v_fma_f16 v193, v67, -0.5, v177
	v_fma_f16 v68, v188, s1, v173
	v_fma_f16 v67, v162, s13, v193
	;; [unrolled: 1-line block ×6, first 2 shown]
	v_mul_f16_e32 v194, 0xb8b4, v68
	v_fma_f16 v194, v67, s15, v194
	v_mul_f16_e32 v67, 0x38b4, v67
	v_fma_f16 v195, v68, s15, v67
	v_fma_f16 v67, v164, s13, v172
	;; [unrolled: 1-line block ×7, first 2 shown]
	v_pk_add_f16 v67, v177, v179
	v_pk_add_f16 v67, v67, v181
	;; [unrolled: 1-line block ×4, first 2 shown]
	v_add_f16_e32 v67, v196, v194
	v_add_f16_e32 v68, v197, v195
	v_pack_b32_f16 v68, v67, v68
	v_pk_add_f16 v67, v174, v177
	ds_write2_b64 v132, v[67:68], v[65:66] offset1:1
	v_sub_f16_e32 v65, v196, v194
	v_sub_f16_e32 v67, v197, v195
	v_pack_b32_f16 v65, v65, v67
	v_fma_f16 v67, v164, s1, v172
	v_fma_f16 v67, v69, s0, v67
	v_sub_f16_e32 v66, v122, v187
	v_sub_f16_e32 v68, v121, v190
	v_fma_f16 v69, v120, s12, v67
	v_fma_f16 v67, v168, s13, v124
	v_pack_b32_f16 v66, v66, v68
	v_fma_f16 v67, v129, s14, v67
	v_fma_f16 v68, v188, s13, v173
	;; [unrolled: 1-line block ×8, first 2 shown]
	v_mul_f16_e32 v121, 0xb8b4, v68
	v_mul_f16_e32 v68, 0xba79, v68
	v_fma_f16 v121, v67, s3, v121
	v_fma_f16 v122, v67, s0, v68
	v_add_f16_e32 v67, v69, v121
	v_add_f16_e32 v124, v120, v122
	v_pk_add_f16 v68, v174, v177 neg_lo:[0,1] neg_hi:[0,1]
	v_pack_b32_f16 v67, v67, v124
	ds_write2_b64 v132, v[67:68], v[65:66] offset0:2 offset1:3
	v_sub_f16_e32 v65, v166, v191
	v_sub_f16_e32 v66, v69, v121
	;; [unrolled: 1-line block ×4, first 2 shown]
	v_pack_b32_f16 v66, v66, v68
	v_pack_b32_f16 v65, v65, v67
	ds_write_b64 v132, v[65:66] offset:32
	v_pk_add_f16 v65, v171, v167
	v_pk_add_f16 v65, v65, v169
	;; [unrolled: 1-line block ×3, first 2 shown]
	v_add_f16_e32 v66, v169, v163
	v_sub_f16_sdwa v69, v169, v163 dst_sel:DWORD dst_unused:UNUSED_PAD src0_sel:WORD_1 src1_sel:WORD_1
	v_add_f16_sdwa v120, v169, v163 dst_sel:DWORD dst_unused:UNUSED_PAD src0_sel:WORD_1 src1_sel:WORD_1
	v_sub_f16_e32 v121, v169, v163
	v_sub_f16_sdwa v124, v167, v165 dst_sel:DWORD dst_unused:UNUSED_PAD src0_sel:WORD_1 src1_sel:WORD_1
	v_add_f16_e32 v129, v167, v165
	v_sub_f16_e32 v132, v167, v165
	v_add_f16_sdwa v161, v167, v165 dst_sel:DWORD dst_unused:UNUSED_PAD src0_sel:WORD_1 src1_sel:WORD_1
	v_sub_f16_e32 v162, v165, v163
	v_sub_f16_e32 v164, v163, v165
	v_sub_f16_sdwa v166, v165, v163 dst_sel:DWORD dst_unused:UNUSED_PAD src0_sel:WORD_1 src1_sel:WORD_1
	v_sub_f16_sdwa v163, v163, v165 dst_sel:DWORD dst_unused:UNUSED_PAD src0_sel:WORD_1 src1_sel:WORD_1
	v_pk_add_f16 v165, v65, v165
	v_pk_add_f16 v65, v178, v180
	v_pk_add_f16 v65, v65, v182
	v_sub_f16_e32 v68, v169, v167
	v_pk_add_f16 v65, v65, v184
	v_pk_add_f16 v185, v65, v186
	v_add_f16_e32 v65, v68, v164
	v_fma_f16 v68, v129, -0.5, v171
	v_fma_f16 v129, v69, s1, v68
	v_fma_f16 v68, v69, s13, v68
	;; [unrolled: 1-line block ×4, first 2 shown]
	v_lshrrev_b32_e32 v68, 16, v171
	v_sub_f16_e32 v67, v167, v169
	v_sub_f16_sdwa v122, v167, v169 dst_sel:DWORD dst_unused:UNUSED_PAD src0_sel:WORD_1 src1_sel:WORD_1
	v_sub_f16_sdwa v123, v169, v167 dst_sel:DWORD dst_unused:UNUSED_PAD src0_sel:WORD_1 src1_sel:WORD_1
	v_add_f16_e32 v167, v182, v184
	v_sub_f16_sdwa v168, v182, v184 dst_sel:DWORD dst_unused:UNUSED_PAD src0_sel:WORD_1 src1_sel:WORD_1
	v_sub_f16_e32 v169, v180, v182
	v_sub_f16_e32 v170, v182, v180
	v_add_f16_sdwa v172, v182, v184 dst_sel:DWORD dst_unused:UNUSED_PAD src0_sel:WORD_1 src1_sel:WORD_1
	v_sub_f16_e32 v173, v182, v184
	v_sub_f16_sdwa v174, v180, v182 dst_sel:DWORD dst_unused:UNUSED_PAD src0_sel:WORD_1 src1_sel:WORD_1
	v_sub_f16_sdwa v175, v182, v180 dst_sel:DWORD dst_unused:UNUSED_PAD src0_sel:WORD_1 src1_sel:WORD_1
	;; [unrolled: 1-line block ×3, first 2 shown]
	v_add_f16_e32 v177, v180, v186
	v_sub_f16_e32 v179, v180, v186
	v_add_f16_sdwa v180, v180, v186 dst_sel:DWORD dst_unused:UNUSED_PAD src0_sel:WORD_1 src1_sel:WORD_1
	v_sub_f16_e32 v181, v186, v184
	v_sub_f16_e32 v182, v184, v186
	v_sub_f16_sdwa v183, v186, v184 dst_sel:DWORD dst_unused:UNUSED_PAD src0_sel:WORD_1 src1_sel:WORD_1
	v_sub_f16_sdwa v184, v184, v186 dst_sel:DWORD dst_unused:UNUSED_PAD src0_sel:WORD_1 src1_sel:WORD_1
	v_fma_f16 v129, v124, s14, v129
	v_fma_f16 v186, v66, -0.5, v171
	v_fma_f16 v66, v161, -0.5, v68
	v_fma_f16 v129, v65, s12, v129
	v_add_f16_e32 v65, v123, v163
	v_fma_f16 v123, v121, s13, v66
	v_fma_f16 v66, v121, s1, v66
	;; [unrolled: 1-line block ×5, first 2 shown]
	v_fma_f16 v66, v177, -0.5, v178
	v_fma_f16 v123, v65, s12, v123
	v_add_f16_e32 v65, v170, v182
	v_fma_f16 v163, v168, s1, v66
	v_fma_f16 v66, v168, s13, v66
	v_lshrrev_b32_e32 v170, 16, v178
	v_fma_f16 v163, v176, s14, v163
	v_fma_f16 v66, v176, s0, v66
	v_fma_f16 v171, v180, -0.5, v170
	v_fma_f16 v163, v65, s12, v163
	v_fma_f16 v65, v65, s12, v66
	v_add_f16_e32 v66, v175, v184
	v_fma_f16 v175, v173, s13, v171
	v_add_f16_e32 v122, v122, v166
	v_add_f16_e32 v166, v169, v181
	v_fma_f16 v169, v172, -0.5, v170
	v_fma_f16 v167, v167, -0.5, v178
	v_fma_f16 v175, v179, s0, v175
	v_fma_f16 v171, v173, s1, v171
	v_fma_f16 v120, v120, -0.5, v68
	v_fma_f16 v68, v179, s1, v169
	v_fma_f16 v175, v66, s12, v175
	;; [unrolled: 1-line block ×3, first 2 shown]
	v_add_f16_e32 v162, v67, v162
	v_add_f16_e32 v170, v174, v183
	v_fma_f16 v67, v176, s13, v167
	v_fma_f16 v68, v173, s0, v68
	;; [unrolled: 1-line block ×3, first 2 shown]
	v_mul_f16_e32 v171, 0xbb9c, v175
	v_mul_f16_e32 v175, 0x34f2, v175
	v_fma_f16 v67, v168, s14, v67
	v_fma_f16 v68, v170, s12, v68
	;; [unrolled: 1-line block ×4, first 2 shown]
	v_mul_f16_e32 v175, 0xbb9c, v66
	v_mul_f16_e32 v66, 0xb4f2, v66
	v_fma_f16 v67, v166, s12, v67
	v_mul_f16_e32 v172, 0xb8b4, v68
	v_fma_f16 v175, v65, s2, v175
	v_fma_f16 v177, v65, s1, v66
	;; [unrolled: 1-line block ×3, first 2 shown]
	v_mul_f16_e32 v67, 0x38b4, v67
	v_add_f16_e32 v65, v164, v175
	v_add_f16_e32 v66, v161, v177
	v_fma_f16 v174, v68, s15, v67
	v_fma_f16 v67, v124, s13, v186
	v_pack_b32_f16 v66, v65, v66
	v_add_f16_e32 v65, v129, v171
	v_add_f16_e32 v178, v123, v163
	v_fma_f16 v67, v69, s14, v67
	v_pack_b32_f16 v65, v65, v178
	v_fma_f16 v178, v162, s12, v67
	v_fma_f16 v67, v132, s1, v120
	;; [unrolled: 1-line block ×4, first 2 shown]
	v_add_f16_e32 v67, v178, v172
	v_add_f16_e32 v68, v180, v174
	v_pack_b32_f16 v68, v67, v68
	v_pk_add_f16 v67, v165, v185
	ds_write2_b64 v131, v[67:68], v[65:66] offset1:1
	v_sub_f16_e32 v65, v178, v172
	v_sub_f16_e32 v67, v180, v174
	v_pack_b32_f16 v65, v65, v67
	v_fma_f16 v67, v124, s1, v186
	v_fma_f16 v67, v69, s0, v67
	v_sub_f16_e32 v66, v129, v171
	v_sub_f16_e32 v68, v123, v163
	v_fma_f16 v69, v162, s12, v67
	v_fma_f16 v67, v132, s13, v120
	v_pack_b32_f16 v66, v66, v68
	v_fma_f16 v67, v121, s14, v67
	v_fma_f16 v68, v179, s13, v169
	;; [unrolled: 1-line block ×8, first 2 shown]
	v_mul_f16_e32 v121, 0xb8b4, v68
	v_mul_f16_e32 v68, 0xba79, v68
	v_fma_f16 v121, v67, s3, v121
	v_fma_f16 v122, v67, s0, v68
	v_add_f16_e32 v67, v69, v121
	v_add_f16_e32 v123, v120, v122
	v_pk_add_f16 v68, v165, v185 neg_lo:[0,1] neg_hi:[0,1]
	v_pack_b32_f16 v67, v67, v123
	ds_write2_b64 v131, v[67:68], v[65:66] offset0:2 offset1:3
	v_sub_f16_e32 v65, v164, v175
	v_sub_f16_e32 v66, v69, v121
	;; [unrolled: 1-line block ×4, first 2 shown]
	v_pack_b32_f16 v66, v66, v68
	v_pack_b32_f16 v65, v65, v67
	ds_write_b64 v131, v[65:66] offset:32
	s_waitcnt lgkmcnt(0)
	s_barrier
	ds_read2_b32 v[65:66], v119 offset0:112 offset1:232
	ds_read2_b32 v[67:68], v118 offset0:80 offset1:200
	;; [unrolled: 1-line block ×5, first 2 shown]
	s_waitcnt lgkmcnt(4)
	v_lshrrev_b32_e32 v69, 16, v66
	v_mul_f16_sdwa v120, v4, v66 dst_sel:DWORD dst_unused:UNUSED_PAD src0_sel:WORD_1 src1_sel:DWORD
	v_fma_f16 v124, v4, v69, -v120
	v_mul_f16_sdwa v69, v4, v69 dst_sel:DWORD dst_unused:UNUSED_PAD src0_sel:WORD_1 src1_sel:DWORD
	v_fma_f16 v129, v4, v66, v69
	s_waitcnt lgkmcnt(3)
	v_lshrrev_b32_e32 v4, 16, v67
	v_mul_f16_sdwa v66, v5, v67 dst_sel:DWORD dst_unused:UNUSED_PAD src0_sel:WORD_1 src1_sel:DWORD
	v_fma_f16 v132, v5, v4, -v66
	v_mul_f16_sdwa v4, v5, v4 dst_sel:DWORD dst_unused:UNUSED_PAD src0_sel:WORD_1 src1_sel:DWORD
	v_fma_f16 v162, v5, v67, v4
	ds_read2_b32 v[4:5], v116 offset0:32 offset1:152
	s_waitcnt lgkmcnt(3)
	v_lshrrev_b32_e32 v66, 16, v164
	v_mul_f16_sdwa v67, v6, v164 dst_sel:DWORD dst_unused:UNUSED_PAD src0_sel:WORD_1 src1_sel:DWORD
	v_fma_f16 v131, v6, v66, -v67
	v_mul_f16_sdwa v66, v6, v66 dst_sel:DWORD dst_unused:UNUSED_PAD src0_sel:WORD_1 src1_sel:DWORD
	v_fma_f16 v161, v6, v164, v66
	s_waitcnt lgkmcnt(0)
	v_lshrrev_b32_e32 v6, 16, v4
	v_mul_f16_sdwa v66, v7, v4 dst_sel:DWORD dst_unused:UNUSED_PAD src0_sel:WORD_1 src1_sel:DWORD
	v_fma_f16 v164, v7, v6, -v66
	v_mul_f16_sdwa v6, v7, v6 dst_sel:DWORD dst_unused:UNUSED_PAD src0_sel:WORD_1 src1_sel:DWORD
	v_fma_f16 v165, v7, v4, v6
	v_lshrrev_b32_e32 v4, 16, v68
	v_mul_f16_sdwa v6, v9, v4 dst_sel:DWORD dst_unused:UNUSED_PAD src0_sel:WORD_1 src1_sel:DWORD
	v_fma_f16 v69, v9, v68, v6
	v_mul_f16_sdwa v6, v9, v68 dst_sel:DWORD dst_unused:UNUSED_PAD src0_sel:WORD_1 src1_sel:DWORD
	v_fma_f16 v66, v9, v4, -v6
	ds_read2_b32 v[6:7], v99 offset0:96 offset1:216
	v_lshrrev_b32_e32 v4, 16, v5
	v_mul_f16_sdwa v9, v11, v4 dst_sel:DWORD dst_unused:UNUSED_PAD src0_sel:WORD_1 src1_sel:DWORD
	v_fma_f16 v123, v11, v5, v9
	v_mul_f16_sdwa v5, v11, v5 dst_sel:DWORD dst_unused:UNUSED_PAD src0_sel:WORD_1 src1_sel:DWORD
	v_fma_f16 v121, v11, v4, -v5
	s_waitcnt lgkmcnt(0)
	v_lshrrev_b32_e32 v4, 16, v6
	v_mul_f16_sdwa v5, v8, v6 dst_sel:DWORD dst_unused:UNUSED_PAD src0_sel:WORD_1 src1_sel:DWORD
	v_fma_f16 v67, v8, v4, -v5
	v_mul_f16_sdwa v4, v8, v4 dst_sel:DWORD dst_unused:UNUSED_PAD src0_sel:WORD_1 src1_sel:DWORD
	v_fma_f16 v120, v8, v6, v4
	v_lshrrev_b32_e32 v4, 16, v166
	v_mul_f16_sdwa v5, v10, v166 dst_sel:DWORD dst_unused:UNUSED_PAD src0_sel:WORD_1 src1_sel:DWORD
	v_fma_f16 v68, v10, v4, -v5
	v_mul_f16_sdwa v4, v10, v4 dst_sel:DWORD dst_unused:UNUSED_PAD src0_sel:WORD_1 src1_sel:DWORD
	v_fma_f16 v122, v10, v166, v4
	v_lshrrev_b32_e32 v4, 16, v7
	v_mul_f16_sdwa v6, v32, v7 dst_sel:DWORD dst_unused:UNUSED_PAD src0_sel:WORD_1 src1_sel:DWORD
	v_mul_f16_sdwa v5, v32, v4 dst_sel:DWORD dst_unused:UNUSED_PAD src0_sel:WORD_1 src1_sel:DWORD
	v_fma_f16 v4, v32, v4, -v6
	v_lshrrev_b32_e32 v6, 16, v163
	v_fma_f16 v5, v32, v7, v5
	v_mul_f16_sdwa v7, v33, v6 dst_sel:DWORD dst_unused:UNUSED_PAD src0_sel:WORD_1 src1_sel:DWORD
	v_fma_f16 v9, v33, v163, v7
	v_mul_f16_sdwa v7, v33, v163 dst_sel:DWORD dst_unused:UNUSED_PAD src0_sel:WORD_1 src1_sel:DWORD
	v_fma_f16 v8, v33, v6, -v7
	ds_read2_b32 v[32:33], v115 offset0:16 offset1:136
	v_lshrrev_b32_e32 v6, 16, v167
	v_mul_f16_sdwa v10, v34, v167 dst_sel:DWORD dst_unused:UNUSED_PAD src0_sel:WORD_1 src1_sel:DWORD
	v_mul_f16_sdwa v7, v34, v6 dst_sel:DWORD dst_unused:UNUSED_PAD src0_sel:WORD_1 src1_sel:DWORD
	v_fma_f16 v6, v34, v6, -v10
	s_waitcnt lgkmcnt(0)
	v_lshrrev_b32_e32 v11, 16, v32
	v_mul_f16_sdwa v10, v35, v32 dst_sel:DWORD dst_unused:UNUSED_PAD src0_sel:WORD_1 src1_sel:DWORD
	v_fma_f16 v10, v35, v11, -v10
	v_mul_f16_sdwa v11, v35, v11 dst_sel:DWORD dst_unused:UNUSED_PAD src0_sel:WORD_1 src1_sel:DWORD
	v_fma_f16 v7, v34, v167, v7
	v_fma_f16 v11, v35, v32, v11
	ds_read2_b32 v[34:35], v114 offset0:112 offset1:232
	v_lshrrev_b32_e32 v32, 16, v33
	v_mul_f16_sdwa v163, v0, v32 dst_sel:DWORD dst_unused:UNUSED_PAD src0_sel:WORD_1 src1_sel:DWORD
	v_fma_f16 v167, v0, v33, v163
	v_mul_f16_sdwa v33, v0, v33 dst_sel:DWORD dst_unused:UNUSED_PAD src0_sel:WORD_1 src1_sel:DWORD
	v_fma_f16 v166, v0, v32, -v33
	s_waitcnt lgkmcnt(0)
	v_lshrrev_b32_e32 v0, 16, v34
	v_mul_f16_sdwa v32, v1, v34 dst_sel:DWORD dst_unused:UNUSED_PAD src0_sel:WORD_1 src1_sel:DWORD
	v_fma_f16 v169, v1, v0, -v32
	v_mul_f16_sdwa v0, v1, v0 dst_sel:DWORD dst_unused:UNUSED_PAD src0_sel:WORD_1 src1_sel:DWORD
	v_fma_f16 v171, v1, v34, v0
	ds_read2_b32 v[0:1], v110 offset0:64 offset1:184
	v_lshrrev_b32_e32 v32, 16, v175
	v_mul_f16_sdwa v33, v2, v175 dst_sel:DWORD dst_unused:UNUSED_PAD src0_sel:WORD_1 src1_sel:DWORD
	v_fma_f16 v168, v2, v32, -v33
	v_mul_f16_sdwa v32, v2, v32 dst_sel:DWORD dst_unused:UNUSED_PAD src0_sel:WORD_1 src1_sel:DWORD
	v_fma_f16 v170, v2, v175, v32
	s_waitcnt lgkmcnt(0)
	v_lshrrev_b32_e32 v2, 16, v0
	v_mul_f16_sdwa v32, v3, v0 dst_sel:DWORD dst_unused:UNUSED_PAD src0_sel:WORD_1 src1_sel:DWORD
	v_fma_f16 v172, v3, v2, -v32
	v_mul_f16_sdwa v2, v3, v2 dst_sel:DWORD dst_unused:UNUSED_PAD src0_sel:WORD_1 src1_sel:DWORD
	v_fma_f16 v173, v3, v0, v2
	v_lshrrev_b32_e32 v0, 16, v35
	v_mul_f16_sdwa v2, v29, v0 dst_sel:DWORD dst_unused:UNUSED_PAD src0_sel:WORD_1 src1_sel:DWORD
	v_fma_f16 v33, v29, v35, v2
	v_mul_f16_sdwa v2, v29, v35 dst_sel:DWORD dst_unused:UNUSED_PAD src0_sel:WORD_1 src1_sel:DWORD
	v_fma_f16 v32, v29, v0, -v2
	ds_read2_b32 v[2:3], v96 offset0:128 offset1:248
	v_lshrrev_b32_e32 v0, 16, v1
	ds_read2_b32 v[175:176], v93 offset0:80 offset1:200
	v_mul_f16_sdwa v29, v31, v0 dst_sel:DWORD dst_unused:UNUSED_PAD src0_sel:WORD_1 src1_sel:DWORD
	v_fma_f16 v163, v31, v1, v29
	v_mul_f16_sdwa v1, v31, v1 dst_sel:DWORD dst_unused:UNUSED_PAD src0_sel:WORD_1 src1_sel:DWORD
	v_fma_f16 v35, v31, v0, -v1
	s_waitcnt lgkmcnt(1)
	v_lshrrev_b32_e32 v0, 16, v2
	v_mul_f16_sdwa v1, v28, v2 dst_sel:DWORD dst_unused:UNUSED_PAD src0_sel:WORD_1 src1_sel:DWORD
	v_fma_f16 v29, v28, v0, -v1
	v_mul_f16_sdwa v0, v28, v0 dst_sel:DWORD dst_unused:UNUSED_PAD src0_sel:WORD_1 src1_sel:DWORD
	v_fma_f16 v34, v28, v2, v0
	s_waitcnt lgkmcnt(0)
	v_lshrrev_b32_e32 v0, 16, v175
	v_mul_f16_sdwa v1, v30, v175 dst_sel:DWORD dst_unused:UNUSED_PAD src0_sel:WORD_1 src1_sel:DWORD
	v_fma_f16 v31, v30, v0, -v1
	v_mul_f16_sdwa v0, v30, v0 dst_sel:DWORD dst_unused:UNUSED_PAD src0_sel:WORD_1 src1_sel:DWORD
	v_fma_f16 v30, v30, v175, v0
	v_lshrrev_b32_e32 v0, 16, v3
	v_mul_f16_sdwa v2, v24, v3 dst_sel:DWORD dst_unused:UNUSED_PAD src0_sel:WORD_1 src1_sel:DWORD
	v_mul_f16_sdwa v1, v24, v0 dst_sel:DWORD dst_unused:UNUSED_PAD src0_sel:WORD_1 src1_sel:DWORD
	v_fma_f16 v0, v24, v0, -v2
	v_lshrrev_b32_e32 v2, 16, v174
	v_fma_f16 v1, v24, v3, v1
	v_mul_f16_sdwa v3, v25, v2 dst_sel:DWORD dst_unused:UNUSED_PAD src0_sel:WORD_1 src1_sel:DWORD
	v_fma_f16 v28, v25, v174, v3
	v_mul_f16_sdwa v3, v25, v174 dst_sel:DWORD dst_unused:UNUSED_PAD src0_sel:WORD_1 src1_sel:DWORD
	ds_read2_b32 v[174:175], v107 offset0:48 offset1:168
	v_fma_f16 v24, v25, v2, -v3
	v_lshrrev_b32_e32 v2, 16, v176
	v_mul_f16_sdwa v3, v26, v2 dst_sel:DWORD dst_unused:UNUSED_PAD src0_sel:WORD_1 src1_sel:DWORD
	v_mul_f16_sdwa v25, v26, v176 dst_sel:DWORD dst_unused:UNUSED_PAD src0_sel:WORD_1 src1_sel:DWORD
	v_fma_f16 v3, v26, v176, v3
	v_fma_f16 v2, v26, v2, -v25
	s_waitcnt lgkmcnt(0)
	v_lshrrev_b32_e32 v26, 16, v174
	v_mul_f16_sdwa v25, v27, v174 dst_sel:DWORD dst_unused:UNUSED_PAD src0_sel:WORD_1 src1_sel:DWORD
	v_fma_f16 v25, v27, v26, -v25
	v_mul_f16_sdwa v26, v27, v26 dst_sel:DWORD dst_unused:UNUSED_PAD src0_sel:WORD_1 src1_sel:DWORD
	v_fma_f16 v26, v27, v174, v26
	v_lshrrev_b32_e32 v27, 16, v175
	v_mul_f16_sdwa v174, v126, v27 dst_sel:DWORD dst_unused:UNUSED_PAD src0_sel:WORD_1 src1_sel:DWORD
	v_fma_f16 v174, v126, v175, v174
	v_mul_f16_sdwa v175, v126, v175 dst_sel:DWORD dst_unused:UNUSED_PAD src0_sel:WORD_1 src1_sel:DWORD
	v_fma_f16 v126, v126, v27, -v175
	v_sub_f16_e32 v27, v162, v165
	v_sub_f16_e32 v175, v173, v171
	v_add_f16_e32 v27, v27, v175
	v_sub_f16_e32 v175, v132, v164
	v_sub_f16_e32 v176, v172, v169
	v_add_f16_e32 v175, v175, v176
	;; [unrolled: 3-line block ×4, first 2 shown]
	v_add_f16_e32 v176, v167, v170
	v_fma_f16 v182, v176, -0.5, v129
	v_sub_f16_e32 v183, v131, v126
	v_fma_f16 v176, v183, s13, v182
	v_sub_f16_e32 v184, v166, v168
	v_fma_f16 v176, v184, s14, v176
	v_fma_f16 v178, v180, s12, v176
	v_add_f16_e32 v176, v166, v168
	v_fma_f16 v185, v176, -0.5, v124
	v_sub_f16_e32 v186, v161, v174
	v_fma_f16 v176, v186, s1, v185
	v_sub_f16_e32 v187, v167, v170
	v_fma_f16 v176, v187, s0, v176
	v_fma_f16 v179, v181, s12, v176
	ds_read2_b32 v[176:177], v113 offset1:120
	v_mul_f16_e32 v188, 0xb8b4, v179
	v_mul_f16_e32 v179, 0x3a79, v179
	v_fma_f16 v188, v178, s15, v188
	v_fma_f16 v189, v178, s0, v179
	s_waitcnt lgkmcnt(0)
	v_add_f16_e32 v178, v176, v162
	v_add_f16_e32 v178, v178, v165
	;; [unrolled: 1-line block ×3, first 2 shown]
	v_lshrrev_b32_e32 v191, 16, v176
	v_add_f16_e32 v190, v178, v173
	v_add_f16_e32 v178, v191, v132
	;; [unrolled: 1-line block ×15, first 2 shown]
	v_pack_b32_f16 v195, v178, v179
	v_add_f16_e32 v178, v165, v171
	v_sub_f16_e32 v201, v162, v173
	v_sub_f16_e32 v202, v165, v171
	;; [unrolled: 1-line block ×3, first 2 shown]
	v_add_f16_e32 v162, v162, v173
	v_sub_f16_e32 v198, v164, v169
	v_sub_f16_e32 v171, v171, v173
	v_fma_f16 v162, v162, -0.5, v176
	v_fma_f16 v196, v178, -0.5, v176
	v_sub_f16_e32 v197, v132, v172
	v_add_f16_e32 v165, v165, v171
	v_fma_f16 v171, v198, s1, v162
	v_fma_f16 v162, v198, s13, v162
	;; [unrolled: 1-line block ×8, first 2 shown]
	v_add_f16_e32 v165, v132, v172
	v_fma_f16 v199, v27, s12, v178
	v_add_f16_e32 v178, v164, v169
	v_fma_f16 v165, v165, -0.5, v191
	v_sub_f16_e32 v132, v164, v132
	v_sub_f16_e32 v164, v169, v172
	v_add_f16_e32 v132, v132, v164
	v_fma_f16 v164, v202, s13, v165
	v_fma_f16 v165, v202, s1, v165
	v_fma_f16 v164, v201, s0, v164
	v_fma_f16 v165, v201, s14, v165
	v_fma_f16 v164, v132, s12, v164
	v_fma_f16 v132, v132, s12, v165
	v_add_f16_e32 v165, v161, v174
	v_fma_f16 v129, v165, -0.5, v129
	v_sub_f16_e32 v161, v167, v161
	v_sub_f16_e32 v165, v170, v174
	v_add_f16_e32 v161, v161, v165
	v_fma_f16 v165, v184, s1, v129
	v_fma_f16 v129, v184, s13, v129
	v_fma_f16 v165, v183, s14, v165
	v_fma_f16 v129, v183, s0, v129
	v_fma_f16 v165, v161, s12, v165
	;; [unrolled: 11-line block ×3, first 2 shown]
	v_fma_f16 v200, v178, -0.5, v191
	v_fma_f16 v124, v126, s12, v124
	v_mul_f16_e32 v126, 0xbb9c, v131
	v_mul_f16_e32 v131, 0x34f2, v131
	v_fma_f16 v178, v201, s1, v200
	v_fma_f16 v126, v165, s12, v126
	;; [unrolled: 1-line block ×3, first 2 shown]
	v_mul_f16_e32 v161, 0xbb9c, v124
	v_mul_f16_e32 v124, 0xb4f2, v124
	v_fma_f16 v178, v202, s0, v178
	v_fma_f16 v161, v129, s2, v161
	;; [unrolled: 1-line block ×3, first 2 shown]
	v_add_f16_e32 v129, v171, v126
	v_add_f16_e32 v165, v164, v131
	v_fma_f16 v203, v175, s12, v178
	v_pack_b32_f16 v129, v129, v165
	v_add_f16_e32 v165, v162, v161
	v_add_f16_e32 v166, v132, v124
	;; [unrolled: 1-line block ×4, first 2 shown]
	v_pack_b32_f16 v165, v165, v166
	v_pack_b32_f16 v204, v178, v179
	ds_read2_b32 v[178:179], v87 offset0:32 offset1:152
	s_waitcnt lgkmcnt(0)
	s_barrier
	ds_write2_b32 v127, v129, v165 offset0:20 offset1:30
	v_fma_f16 v129, v197, s1, v196
	v_fma_f16 v166, v186, s13, v185
	;; [unrolled: 1-line block ×11, first 2 shown]
	v_mul_f16_e32 v167, 0xb8b4, v166
	v_mul_f16_e32 v166, 0xba79, v166
	v_fma_f16 v129, v175, s12, v129
	v_fma_f16 v167, v165, s3, v167
	;; [unrolled: 1-line block ×3, first 2 shown]
	v_sub_f16_e32 v166, v190, v193
	v_sub_f16_e32 v168, v192, v194
	v_add_f16_e32 v169, v27, v167
	v_add_f16_e32 v170, v129, v165
	v_pack_b32_f16 v169, v169, v170
	v_pack_b32_f16 v166, v166, v168
	ds_write2_b32 v127, v169, v166 offset0:40 offset1:50
	v_sub_f16_e32 v166, v199, v188
	v_sub_f16_e32 v126, v171, v126
	;; [unrolled: 1-line block ×4, first 2 shown]
	v_pack_b32_f16 v164, v166, v168
	v_pack_b32_f16 v126, v126, v131
	ds_write2_b32 v127, v164, v126 offset0:60 offset1:70
	v_sub_f16_e32 v126, v162, v161
	v_sub_f16_e32 v27, v27, v167
	;; [unrolled: 1-line block ×4, first 2 shown]
	v_pack_b32_f16 v124, v126, v124
	v_pack_b32_f16 v27, v27, v129
	ds_write2_b32 v127, v124, v27 offset0:80 offset1:90
	v_lshrrev_b32_e32 v27, 16, v178
	v_mul_f16_sdwa v124, v128, v178 dst_sel:DWORD dst_unused:UNUSED_PAD src0_sel:WORD_1 src1_sel:DWORD
	v_fma_f16 v124, v128, v27, -v124
	v_mul_f16_sdwa v27, v128, v27 dst_sel:DWORD dst_unused:UNUSED_PAD src0_sel:WORD_1 src1_sel:DWORD
	v_sub_f16_e32 v131, v69, v123
	v_sub_f16_e32 v132, v163, v33
	v_fma_f16 v27, v128, v178, v27
	v_add_f16_e32 v131, v131, v132
	v_sub_f16_e32 v132, v66, v121
	v_sub_f16_e32 v161, v35, v32
	v_add_f16_e32 v132, v132, v161
	v_sub_f16_e32 v161, v122, v34
	v_sub_f16_e32 v162, v27, v30
	;; [unrolled: 3-line block ×3, first 2 shown]
	v_add_f16_e32 v168, v29, v31
	v_add_f16_e32 v162, v162, v164
	;; [unrolled: 1-line block ×3, first 2 shown]
	v_fma_f16 v168, v168, -0.5, v67
	v_sub_f16_e32 v169, v122, v27
	v_fma_f16 v164, v164, -0.5, v120
	v_sub_f16_e32 v165, v68, v124
	v_fma_f16 v170, v169, s1, v168
	v_sub_f16_e32 v171, v34, v30
	v_fma_f16 v166, v165, s13, v164
	;; [unrolled: 2-line block ×3, first 2 shown]
	v_fma_f16 v166, v167, s14, v166
	v_fma_f16 v170, v162, s12, v170
	v_lshrrev_b32_e32 v128, 16, v177
	v_fma_f16 v166, v161, s12, v166
	v_mul_f16_e32 v172, 0xb8b4, v170
	v_mul_f16_e32 v170, 0x3a79, v170
	v_add_f16_e32 v129, v177, v69
	v_fma_f16 v172, v166, s15, v172
	v_fma_f16 v166, v166, s0, v170
	v_add_f16_e32 v170, v128, v66
	v_add_f16_e32 v173, v120, v122
	;; [unrolled: 1-line block ×11, first 2 shown]
	ds_write2_b32 v127, v195, v204 offset1:10
	v_add_f16_e32 v127, v69, v163
	v_add_f16_e32 v129, v129, v163
	v_add_f16_e32 v170, v170, v35
	v_add_f16_e32 v173, v173, v27
	v_add_f16_e32 v174, v174, v124
	v_add_f16_e32 v126, v123, v33
	v_fma_f16 v127, v127, -0.5, v177
	v_add_f16_e32 v175, v129, v173
	v_add_f16_e32 v176, v170, v174
	v_sub_f16_e32 v178, v121, v32
	v_sub_f16_e32 v181, v69, v163
	;; [unrolled: 1-line block ×5, first 2 shown]
	v_pack_b32_f16 v175, v175, v176
	v_sub_f16_e32 v176, v66, v35
	v_add_f16_e32 v33, v69, v33
	v_fma_f16 v69, v178, s1, v127
	v_fma_f16 v123, v178, s13, v127
	;; [unrolled: 1-line block ×6, first 2 shown]
	v_add_f16_e32 v123, v66, v35
	v_add_f16_e32 v180, v121, v32
	v_fma_f16 v123, v123, -0.5, v128
	v_sub_f16_e32 v66, v121, v66
	v_sub_f16_e32 v32, v32, v35
	v_add_f16_e32 v32, v66, v32
	v_fma_f16 v35, v183, s13, v123
	v_fma_f16 v66, v183, s1, v123
	v_fma_f16 v35, v181, s0, v35
	v_fma_f16 v66, v181, s14, v66
	v_fma_f16 v35, v32, s12, v35
	v_fma_f16 v32, v32, s12, v66
	v_add_f16_e32 v66, v122, v27
	v_fma_f16 v66, v66, -0.5, v120
	v_sub_f16_e32 v34, v34, v122
	v_sub_f16_e32 v27, v30, v27
	v_add_f16_e32 v27, v34, v27
	v_fma_f16 v30, v167, s1, v66
	v_fma_f16 v34, v167, s13, v66
	v_fma_f16 v30, v165, s14, v30
	v_fma_f16 v34, v165, s0, v34
	v_fma_f16 v30, v27, s12, v30
	v_fma_f16 v27, v27, s12, v34
	;; [unrolled: 11-line block ×3, first 2 shown]
	v_mul_f16_e32 v34, 0xbb9c, v31
	v_mul_f16_e32 v31, 0x34f2, v31
	v_fma_f16 v34, v30, s12, v34
	v_fma_f16 v30, v30, s1, v31
	v_mul_f16_e32 v31, 0xbb9c, v29
	v_mul_f16_e32 v29, 0xb4f2, v29
	v_fma_f16 v31, v27, s2, v31
	v_fma_f16 v27, v27, s1, v29
	v_add_f16_e32 v29, v69, v34
	v_add_f16_e32 v66, v35, v30
	v_pack_b32_f16 v29, v29, v66
	v_add_f16_e32 v66, v33, v31
	v_add_f16_e32 v67, v32, v27
	v_fma_f16 v68, v169, s13, v168
	v_fma_f16 v126, v126, -0.5, v177
	v_fma_f16 v180, v180, -0.5, v128
	v_pack_b32_f16 v66, v66, v67
	v_fma_f16 v67, v165, s1, v164
	v_fma_f16 v68, v171, s14, v68
	ds_write2_b32 v130, v29, v66 offset0:20 offset1:30
	v_fma_f16 v29, v176, s1, v126
	v_fma_f16 v66, v181, s13, v180
	;; [unrolled: 1-line block ×7, first 2 shown]
	v_mul_f16_e32 v120, 0xb8b4, v68
	v_mul_f16_e32 v68, 0xba79, v68
	v_fma_f16 v177, v176, s13, v126
	v_fma_f16 v182, v181, s1, v180
	;; [unrolled: 1-line block ×8, first 2 shown]
	v_sub_f16_e32 v68, v129, v173
	v_sub_f16_e32 v121, v170, v174
	v_add_f16_e32 v122, v29, v120
	v_add_f16_e32 v123, v66, v67
	v_fma_f16 v177, v131, s12, v177
	v_fma_f16 v182, v132, s12, v182
	v_pack_b32_f16 v122, v122, v123
	v_pack_b32_f16 v68, v68, v121
	ds_write2_b32 v130, v122, v68 offset0:40 offset1:50
	v_sub_f16_e32 v68, v177, v172
	v_sub_f16_e32 v34, v69, v34
	;; [unrolled: 1-line block ×4, first 2 shown]
	v_pack_b32_f16 v35, v68, v69
	v_pack_b32_f16 v30, v34, v30
	ds_write2_b32 v130, v35, v30 offset0:60 offset1:70
	v_sub_f16_e32 v30, v33, v31
	v_sub_f16_e32 v29, v29, v120
	;; [unrolled: 1-line block ×4, first 2 shown]
	v_pack_b32_f16 v27, v30, v27
	v_pack_b32_f16 v29, v29, v31
	ds_write2_b32 v130, v27, v29 offset0:80 offset1:90
	v_lshrrev_b32_e32 v27, 16, v179
	v_mul_f16_sdwa v30, v125, v179 dst_sel:DWORD dst_unused:UNUSED_PAD src0_sel:WORD_1 src1_sel:DWORD
	v_mul_f16_sdwa v29, v125, v27 dst_sel:DWORD dst_unused:UNUSED_PAD src0_sel:WORD_1 src1_sel:DWORD
	v_fma_f16 v27, v125, v27, -v30
	v_add_f16_e32 v30, v11, v28
	v_add_f16_e32 v31, v9, v26
	v_sub_f16_e32 v34, v9, v11
	v_sub_f16_e32 v35, v26, v28
	v_fma_f16 v29, v125, v179, v29
	v_fma_f16 v30, v30, -0.5, v65
	v_fma_f16 v31, v31, -0.5, v65
	v_lshrrev_b32_e32 v32, 16, v65
	v_add_f16_e32 v33, v65, v9
	v_add_f16_e32 v34, v34, v35
	v_sub_f16_e32 v35, v8, v10
	v_sub_f16_e32 v65, v25, v24
	v_add_f16_e32 v35, v35, v65
	v_sub_f16_e32 v65, v7, v1
	v_sub_f16_e32 v66, v29, v3
	;; [unrolled: 3-line block ×3, first 2 shown]
	v_add_f16_e32 v121, v0, v2
	v_add_f16_e32 v66, v66, v67
	;; [unrolled: 1-line block ×3, first 2 shown]
	v_fma_f16 v121, v121, -0.5, v4
	v_sub_f16_e32 v122, v7, v29
	v_fma_f16 v67, v67, -0.5, v5
	v_sub_f16_e32 v68, v6, v27
	v_fma_f16 v123, v122, s1, v121
	v_sub_f16_e32 v124, v1, v3
	v_fma_f16 v69, v68, s13, v67
	;; [unrolled: 2-line block ×3, first 2 shown]
	v_fma_f16 v69, v120, s14, v69
	v_fma_f16 v123, v66, s12, v123
	v_fma_f16 v69, v65, s12, v69
	v_mul_f16_e32 v125, 0xb8b4, v123
	v_mul_f16_e32 v123, 0x3a79, v123
	v_fma_f16 v125, v69, s15, v125
	v_fma_f16 v69, v69, s0, v123
	v_add_f16_e32 v123, v32, v8
	v_add_f16_e32 v126, v5, v7
	;; [unrolled: 1-line block ×17, first 2 shown]
	v_sub_f16_e32 v131, v10, v24
	v_sub_f16_e32 v161, v9, v26
	;; [unrolled: 1-line block ×5, first 2 shown]
	v_pack_b32_f16 v128, v128, v129
	v_sub_f16_e32 v129, v8, v25
	v_add_f16_e32 v9, v9, v11
	v_fma_f16 v11, v131, s1, v31
	v_fma_f16 v26, v131, s13, v31
	;; [unrolled: 1-line block ×6, first 2 shown]
	v_add_f16_e32 v26, v8, v25
	v_add_f16_e32 v132, v10, v24
	v_fma_f16 v26, v26, -0.5, v32
	v_sub_f16_e32 v8, v10, v8
	v_sub_f16_e32 v10, v24, v25
	v_add_f16_e32 v8, v8, v10
	v_fma_f16 v10, v163, s13, v26
	v_fma_f16 v24, v163, s1, v26
	v_fma_f16 v10, v161, s0, v10
	v_fma_f16 v24, v161, s14, v24
	v_fma_f16 v10, v8, s12, v10
	v_fma_f16 v8, v8, s12, v24
	v_add_f16_e32 v24, v7, v29
	v_fma_f16 v5, v24, -0.5, v5
	v_sub_f16_e32 v1, v1, v7
	v_sub_f16_e32 v3, v3, v29
	v_add_f16_e32 v1, v1, v3
	v_fma_f16 v3, v120, s1, v5
	v_fma_f16 v5, v120, s13, v5
	v_fma_f16 v3, v68, s14, v3
	v_fma_f16 v5, v68, s0, v5
	v_fma_f16 v3, v1, s12, v3
	v_fma_f16 v1, v1, s12, v5
	;; [unrolled: 11-line block ×3, first 2 shown]
	v_mul_f16_e32 v4, 0xbb9c, v2
	v_mul_f16_e32 v2, 0x34f2, v2
	v_fma_f16 v4, v3, s12, v4
	v_fma_f16 v2, v3, s1, v2
	v_mul_f16_e32 v3, 0xbb9c, v0
	v_mul_f16_e32 v0, 0xb4f2, v0
	v_fma_f16 v3, v1, s2, v3
	v_fma_f16 v0, v1, s1, v0
	v_add_f16_e32 v1, v11, v4
	v_add_f16_e32 v5, v10, v2
	v_add_f16_e32 v184, v177, v172
	v_add_f16_e32 v185, v182, v166
	v_pack_b32_f16 v1, v1, v5
	v_add_f16_e32 v5, v9, v3
	v_add_f16_e32 v6, v8, v0
	v_fma_f16 v7, v122, s13, v121
	v_pack_b32_f16 v184, v184, v185
	v_fma_f16 v132, v132, -0.5, v32
	v_pack_b32_f16 v5, v5, v6
	v_fma_f16 v6, v68, s1, v67
	v_fma_f16 v7, v124, s14, v7
	ds_write2_b32 v130, v175, v184 offset1:10
	ds_write2_b32 v148, v1, v5 offset0:20 offset1:30
	v_fma_f16 v1, v129, s1, v30
	v_fma_f16 v5, v161, s13, v132
	;; [unrolled: 1-line block ×7, first 2 shown]
	v_mul_f16_e32 v24, 0xb8b4, v7
	v_mul_f16_e32 v7, 0xba79, v7
	v_fma_f16 v130, v129, s13, v30
	v_fma_f16 v162, v161, s1, v132
	;; [unrolled: 1-line block ×8, first 2 shown]
	v_sub_f16_e32 v7, v33, v126
	v_sub_f16_e32 v25, v123, v127
	v_add_f16_e32 v26, v1, v24
	v_add_f16_e32 v27, v5, v6
	v_fma_f16 v130, v34, s12, v130
	v_fma_f16 v162, v35, s12, v162
	v_pack_b32_f16 v26, v26, v27
	v_pack_b32_f16 v7, v7, v25
	ds_write2_b32 v148, v26, v7 offset0:40 offset1:50
	v_sub_f16_e32 v7, v130, v125
	v_sub_f16_e32 v4, v11, v4
	;; [unrolled: 1-line block ×4, first 2 shown]
	v_pack_b32_f16 v7, v7, v11
	v_pack_b32_f16 v2, v4, v2
	v_add_f16_e32 v164, v130, v125
	v_add_f16_e32 v165, v162, v69
	ds_write2_b32 v148, v7, v2 offset0:60 offset1:70
	v_sub_f16_e32 v2, v9, v3
	v_sub_f16_e32 v1, v1, v24
	;; [unrolled: 1-line block ×4, first 2 shown]
	v_pack_b32_f16 v164, v164, v165
	v_pack_b32_f16 v0, v2, v0
	;; [unrolled: 1-line block ×3, first 2 shown]
	ds_write2_b32 v148, v128, v164 offset1:10
	ds_write2_b32 v148, v0, v1 offset0:80 offset1:90
	s_waitcnt lgkmcnt(0)
	s_barrier
	ds_read2_b32 v[0:1], v99 offset0:96 offset1:216
	ds_read2_b32 v[2:3], v97 offset0:48 offset1:168
	ds_read2_b32 v[29:30], v114 offset0:112 offset1:232
	ds_read2_b32 v[31:32], v110 offset0:64 offset1:184
	s_mov_b32 s2, 0x789abcdf
	s_waitcnt lgkmcnt(3)
	v_lshrrev_b32_e32 v4, 16, v1
	v_mul_f16_sdwa v5, v16, v4 dst_sel:DWORD dst_unused:UNUSED_PAD src0_sel:WORD_1 src1_sel:DWORD
	v_fma_f16 v33, v16, v1, v5
	v_mul_f16_sdwa v1, v16, v1 dst_sel:DWORD dst_unused:UNUSED_PAD src0_sel:WORD_1 src1_sel:DWORD
	v_fma_f16 v34, v16, v4, -v1
	s_waitcnt lgkmcnt(2)
	v_lshrrev_b32_e32 v1, 16, v2
	ds_read2_b32 v[5:6], v115 offset0:16 offset1:136
	v_mul_f16_sdwa v4, v17, v2 dst_sel:DWORD dst_unused:UNUSED_PAD src0_sel:WORD_1 src1_sel:DWORD
	v_fma_f16 v35, v17, v1, -v4
	v_mul_f16_sdwa v1, v17, v1 dst_sel:DWORD dst_unused:UNUSED_PAD src0_sel:WORD_1 src1_sel:DWORD
	v_fma_f16 v65, v17, v2, v1
	ds_read2_b32 v[1:2], v112 offset0:96 offset1:216
	s_waitcnt lgkmcnt(1)
	v_lshrrev_b32_e32 v4, 16, v6
	v_mul_f16_sdwa v7, v18, v6 dst_sel:DWORD dst_unused:UNUSED_PAD src0_sel:WORD_1 src1_sel:DWORD
	v_fma_f16 v66, v18, v4, -v7
	v_mul_f16_sdwa v4, v18, v4 dst_sel:DWORD dst_unused:UNUSED_PAD src0_sel:WORD_1 src1_sel:DWORD
	v_fma_f16 v67, v18, v6, v4
	s_waitcnt lgkmcnt(0)
	v_lshrrev_b32_e32 v4, 16, v1
	v_mul_f16_sdwa v6, v19, v1 dst_sel:DWORD dst_unused:UNUSED_PAD src0_sel:WORD_1 src1_sel:DWORD
	v_fma_f16 v68, v19, v4, -v6
	v_mul_f16_sdwa v4, v19, v4 dst_sel:DWORD dst_unused:UNUSED_PAD src0_sel:WORD_1 src1_sel:DWORD
	v_fma_f16 v69, v19, v1, v4
	v_lshrrev_b32_e32 v1, 16, v3
	v_mul_f16_sdwa v4, v53, v1 dst_sel:DWORD dst_unused:UNUSED_PAD src0_sel:WORD_1 src1_sel:DWORD
	v_fma_f16 v120, v53, v3, v4
	v_mul_f16_sdwa v3, v53, v3 dst_sel:DWORD dst_unused:UNUSED_PAD src0_sel:WORD_1 src1_sel:DWORD
	v_fma_f16 v53, v53, v1, -v3
	v_lshrrev_b32_e32 v1, 16, v2
	ds_read2_b32 v[3:4], v118 offset0:80 offset1:200
	v_mul_f16_sdwa v6, v55, v1 dst_sel:DWORD dst_unused:UNUSED_PAD src0_sel:WORD_1 src1_sel:DWORD
	v_fma_f16 v121, v55, v2, v6
	v_mul_f16_sdwa v2, v55, v2 dst_sel:DWORD dst_unused:UNUSED_PAD src0_sel:WORD_1 src1_sel:DWORD
	v_fma_f16 v55, v55, v1, -v2
	ds_read2_b32 v[1:2], v96 offset0:128 offset1:248
	s_waitcnt lgkmcnt(1)
	v_lshrrev_b32_e32 v6, 16, v3
	v_mul_f16_sdwa v7, v52, v3 dst_sel:DWORD dst_unused:UNUSED_PAD src0_sel:WORD_1 src1_sel:DWORD
	v_fma_f16 v122, v52, v6, -v7
	v_mul_f16_sdwa v6, v52, v6 dst_sel:DWORD dst_unused:UNUSED_PAD src0_sel:WORD_1 src1_sel:DWORD
	v_fma_f16 v52, v52, v3, v6
	s_waitcnt lgkmcnt(0)
	v_lshrrev_b32_e32 v3, 16, v1
	v_mul_f16_sdwa v6, v54, v1 dst_sel:DWORD dst_unused:UNUSED_PAD src0_sel:WORD_1 src1_sel:DWORD
	v_fma_f16 v123, v54, v3, -v6
	v_mul_f16_sdwa v3, v54, v3 dst_sel:DWORD dst_unused:UNUSED_PAD src0_sel:WORD_1 src1_sel:DWORD
	v_fma_f16 v54, v54, v1, v3
	v_lshrrev_b32_e32 v1, 16, v4
	v_mul_f16_sdwa v3, v48, v1 dst_sel:DWORD dst_unused:UNUSED_PAD src0_sel:WORD_1 src1_sel:DWORD
	v_fma_f16 v8, v48, v4, v3
	v_mul_f16_sdwa v3, v48, v4 dst_sel:DWORD dst_unused:UNUSED_PAD src0_sel:WORD_1 src1_sel:DWORD
	v_fma_f16 v10, v48, v1, -v3
	v_lshrrev_b32_e32 v1, 16, v2
	ds_read2_b32 v[3:4], v116 offset0:32 offset1:152
	v_mul_f16_sdwa v6, v50, v1 dst_sel:DWORD dst_unused:UNUSED_PAD src0_sel:WORD_1 src1_sel:DWORD
	v_fma_f16 v24, v50, v2, v6
	v_mul_f16_sdwa v2, v50, v2 dst_sel:DWORD dst_unused:UNUSED_PAD src0_sel:WORD_1 src1_sel:DWORD
	v_fma_f16 v28, v50, v1, -v2
	ds_read2_b32 v[1:2], v93 offset0:80 offset1:200
	s_waitcnt lgkmcnt(1)
	v_lshrrev_b32_e32 v6, 16, v3
	v_mul_f16_sdwa v7, v49, v3 dst_sel:DWORD dst_unused:UNUSED_PAD src0_sel:WORD_1 src1_sel:DWORD
	v_fma_f16 v48, v49, v6, -v7
	v_mul_f16_sdwa v6, v49, v6 dst_sel:DWORD dst_unused:UNUSED_PAD src0_sel:WORD_1 src1_sel:DWORD
	v_fma_f16 v49, v49, v3, v6
	s_waitcnt lgkmcnt(0)
	v_lshrrev_b32_e32 v3, 16, v1
	v_mul_f16_sdwa v6, v51, v1 dst_sel:DWORD dst_unused:UNUSED_PAD src0_sel:WORD_1 src1_sel:DWORD
	v_fma_f16 v50, v51, v3, -v6
	v_mul_f16_sdwa v3, v51, v3 dst_sel:DWORD dst_unused:UNUSED_PAD src0_sel:WORD_1 src1_sel:DWORD
	v_fma_f16 v51, v51, v1, v3
	v_lshrrev_b32_e32 v1, 16, v4
	v_mul_f16_sdwa v3, v45, v1 dst_sel:DWORD dst_unused:UNUSED_PAD src0_sel:WORD_1 src1_sel:DWORD
	v_fma_f16 v7, v45, v4, v3
	v_mul_f16_sdwa v3, v45, v4 dst_sel:DWORD dst_unused:UNUSED_PAD src0_sel:WORD_1 src1_sel:DWORD
	v_fma_f16 v9, v45, v1, -v3
	ds_read2_b32 v[3:4], v117 offset0:64 offset1:184
	v_lshrrev_b32_e32 v1, 16, v2
	v_mul_f16_sdwa v6, v47, v1 dst_sel:DWORD dst_unused:UNUSED_PAD src0_sel:WORD_1 src1_sel:DWORD
	v_fma_f16 v18, v47, v2, v6
	v_mul_f16_sdwa v2, v47, v2 dst_sel:DWORD dst_unused:UNUSED_PAD src0_sel:WORD_1 src1_sel:DWORD
	v_fma_f16 v27, v47, v1, -v2
	s_waitcnt lgkmcnt(0)
	v_lshrrev_b32_e32 v1, 16, v3
	v_mul_f16_sdwa v2, v44, v3 dst_sel:DWORD dst_unused:UNUSED_PAD src0_sel:WORD_1 src1_sel:DWORD
	v_fma_f16 v11, v44, v1, -v2
	v_mul_f16_sdwa v1, v44, v1 dst_sel:DWORD dst_unused:UNUSED_PAD src0_sel:WORD_1 src1_sel:DWORD
	v_fma_f16 v17, v44, v3, v1
	v_lshrrev_b32_e32 v1, 16, v29
	v_mul_f16_sdwa v2, v46, v29 dst_sel:DWORD dst_unused:UNUSED_PAD src0_sel:WORD_1 src1_sel:DWORD
	v_fma_f16 v26, v46, v1, -v2
	v_mul_f16_sdwa v1, v46, v1 dst_sel:DWORD dst_unused:UNUSED_PAD src0_sel:WORD_1 src1_sel:DWORD
	v_lshrrev_b32_e32 v2, 16, v4
	v_mul_f16_sdwa v3, v40, v4 dst_sel:DWORD dst_unused:UNUSED_PAD src0_sel:WORD_1 src1_sel:DWORD
	v_fma_f16 v25, v46, v29, v1
	v_mul_f16_sdwa v1, v40, v2 dst_sel:DWORD dst_unused:UNUSED_PAD src0_sel:WORD_1 src1_sel:DWORD
	v_fma_f16 v2, v40, v2, -v3
	v_lshrrev_b32_e32 v3, 16, v5
	v_fma_f16 v1, v40, v4, v1
	v_mul_f16_sdwa v4, v41, v3 dst_sel:DWORD dst_unused:UNUSED_PAD src0_sel:WORD_1 src1_sel:DWORD
	v_fma_f16 v4, v41, v5, v4
	v_mul_f16_sdwa v5, v41, v5 dst_sel:DWORD dst_unused:UNUSED_PAD src0_sel:WORD_1 src1_sel:DWORD
	v_fma_f16 v6, v41, v3, -v5
	v_lshrrev_b32_e32 v5, 16, v30
	v_mul_f16_sdwa v3, v42, v5 dst_sel:DWORD dst_unused:UNUSED_PAD src0_sel:WORD_1 src1_sel:DWORD
	v_mul_f16_sdwa v16, v42, v30 dst_sel:DWORD dst_unused:UNUSED_PAD src0_sel:WORD_1 src1_sel:DWORD
	v_fma_f16 v3, v42, v30, v3
	v_fma_f16 v5, v42, v5, -v16
	v_lshrrev_b32_e32 v16, 16, v31
	v_mul_f16_sdwa v19, v43, v31 dst_sel:DWORD dst_unused:UNUSED_PAD src0_sel:WORD_1 src1_sel:DWORD
	ds_read2_b32 v[29:30], v113 offset1:120
	v_fma_f16 v19, v43, v16, -v19
	v_mul_f16_sdwa v16, v43, v16 dst_sel:DWORD dst_unused:UNUSED_PAD src0_sel:WORD_1 src1_sel:DWORD
	v_fma_f16 v16, v43, v31, v16
	v_lshrrev_b32_e32 v31, 16, v32
	v_mul_f16_sdwa v40, v135, v31 dst_sel:DWORD dst_unused:UNUSED_PAD src0_sel:WORD_1 src1_sel:DWORD
	v_fma_f16 v40, v135, v32, v40
	v_mul_f16_sdwa v32, v135, v32 dst_sel:DWORD dst_unused:UNUSED_PAD src0_sel:WORD_1 src1_sel:DWORD
	v_fma_f16 v31, v135, v31, -v32
	s_waitcnt lgkmcnt(0)
	v_lshrrev_b32_e32 v32, 16, v29
	v_add_f16_e32 v41, v32, v35
	v_add_f16_e32 v42, v41, v68
	v_sub_f16_e32 v43, v35, v68
	v_add_f16_e32 v35, v35, v68
	v_add_f16_e32 v41, v34, v66
	v_fma_f16 v35, v35, -0.5, v32
	v_add_f16_e32 v32, v29, v65
	v_add_f16_e32 v46, v41, v31
	v_sub_f16_e32 v47, v66, v31
	v_add_f16_e32 v31, v66, v31
	v_add_f16_e32 v44, v32, v69
	;; [unrolled: 1-line block ×3, first 2 shown]
	v_sub_f16_e32 v45, v65, v69
	v_fma_f16 v65, v31, -0.5, v34
	v_add_f16_e32 v31, v67, v40
	v_fma_f16 v66, v31, -0.5, v33
	v_add_f16_e32 v31, v33, v67
	v_sub_f16_e32 v67, v67, v40
	v_fma_f16 v33, v67, s17, v65
	v_fma_f16 v29, v32, -0.5, v29
	v_fma_f16 v127, v45, s17, v35
	v_fma_f16 v35, v45, s18, v35
	;; [unrolled: 1-line block ×3, first 2 shown]
	v_add_f16_e32 v68, v31, v40
	v_fma_f16 v31, v47, s18, v66
	v_mul_f16_e32 v34, 0xbaee, v33
	v_mul_f16_e32 v33, 0.5, v33
	v_fma_f16 v126, v43, s18, v29
	v_fma_f16 v29, v43, s17, v29
	;; [unrolled: 1-line block ×3, first 2 shown]
	v_mul_f16_e32 v47, 0xbaee, v45
	v_mul_f16_e32 v45, -0.5, v45
	v_fma_f16 v69, v31, 0.5, v34
	v_fma_f16 v124, v31, s17, v33
	v_add_f16_e32 v31, v44, v68
	v_add_f16_e32 v33, v42, v46
	v_fma_f16 v47, v43, -0.5, v47
	v_fma_f16 v43, v43, s17, v45
	v_pack_b32_f16 v125, v31, v33
	v_add_f16_e32 v31, v126, v69
	v_add_f16_e32 v32, v127, v124
	v_sub_f16_e32 v44, v44, v68
	v_sub_f16_e32 v42, v42, v46
	v_add_f16_e32 v45, v29, v47
	v_add_f16_e32 v46, v35, v43
	v_pack_b32_f16 v128, v31, v32
	ds_read2_b32 v[31:32], v107 offset0:48 offset1:168
	ds_read2_b32 v[33:34], v119 offset0:112 offset1:232
	;; [unrolled: 1-line block ×3, first 2 shown]
	v_pack_b32_f16 v45, v45, v46
	v_pack_b32_f16 v42, v44, v42
	s_waitcnt lgkmcnt(0)
	s_barrier
	ds_write2_b32 v151, v45, v42 offset0:72 offset1:172
	v_sub_f16_e32 v42, v126, v69
	v_sub_f16_e32 v29, v29, v47
	;; [unrolled: 1-line block ×4, first 2 shown]
	v_pack_b32_f16 v42, v42, v44
	v_pack_b32_f16 v29, v29, v35
	ds_write2_b32 v152, v42, v29 offset0:144 offset1:244
	v_lshrrev_b32_e32 v29, 16, v31
	v_mul_f16_sdwa v35, v149, v31 dst_sel:DWORD dst_unused:UNUSED_PAD src0_sel:WORD_1 src1_sel:DWORD
	v_fma_f16 v35, v149, v29, -v35
	v_mul_f16_sdwa v29, v149, v29 dst_sel:DWORD dst_unused:UNUSED_PAD src0_sel:WORD_1 src1_sel:DWORD
	v_fma_f16 v29, v149, v31, v29
	v_lshrrev_b32_e32 v42, 16, v30
	v_add_f16_e32 v43, v42, v53
	v_sub_f16_e32 v44, v53, v55
	v_add_f16_e32 v45, v53, v55
	v_add_f16_e32 v46, v122, v123
	;; [unrolled: 1-line block ×4, first 2 shown]
	v_sub_f16_e32 v47, v123, v35
	v_add_f16_e32 v35, v123, v35
	v_fma_f16 v53, v53, -0.5, v52
	v_add_f16_e32 v52, v52, v54
	v_add_f16_e32 v31, v120, v121
	v_fma_f16 v35, v35, -0.5, v122
	v_add_f16_e32 v52, v52, v29
	v_sub_f16_e32 v29, v54, v29
	v_fma_f16 v31, v31, -0.5, v30
	v_add_f16_e32 v30, v30, v120
	v_add_f16_e32 v43, v43, v55
	v_fma_f16 v55, v29, s17, v35
	v_add_f16_e32 v30, v30, v121
	v_fma_f16 v54, v47, s18, v53
	v_mul_f16_e32 v65, 0xbaee, v55
	v_mul_f16_e32 v55, 0.5, v55
	v_fma_f16 v65, v54, 0.5, v65
	v_fma_f16 v54, v54, s17, v55
	v_add_f16_e32 v55, v30, v52
	v_add_f16_e32 v66, v43, v46
	v_fma_f16 v29, v29, s18, v35
	v_fma_f16 v42, v45, -0.5, v42
	v_sub_f16_e32 v45, v120, v121
	v_pack_b32_f16 v55, v55, v66
	v_fma_f16 v66, v44, s18, v31
	v_fma_f16 v31, v44, s17, v31
	;; [unrolled: 1-line block ×3, first 2 shown]
	v_mul_f16_e32 v35, 0xbaee, v29
	v_mul_f16_e32 v29, -0.5, v29
	v_fma_f16 v67, v45, s17, v42
	v_fma_f16 v42, v45, s18, v42
	v_fma_f16 v35, v44, -0.5, v35
	v_fma_f16 v29, v44, s17, v29
	v_sub_f16_e32 v30, v30, v52
	v_sub_f16_e32 v43, v43, v46
	v_add_f16_e32 v44, v31, v35
	v_add_f16_e32 v45, v42, v29
	v_pack_b32_f16 v44, v44, v45
	v_pack_b32_f16 v30, v30, v43
	ds_write2_b32 v150, v125, v128 offset1:100
	ds_write2_b32 v154, v44, v30 offset0:72 offset1:172
	v_sub_f16_e32 v30, v66, v65
	v_sub_f16_e32 v31, v31, v35
	;; [unrolled: 1-line block ×4, first 2 shown]
	v_pack_b32_f16 v30, v30, v35
	v_pack_b32_f16 v29, v31, v29
	ds_write2_b32 v155, v30, v29 offset0:144 offset1:244
	v_lshrrev_b32_e32 v29, 16, v32
	v_mul_f16_sdwa v30, v147, v29 dst_sel:DWORD dst_unused:UNUSED_PAD src0_sel:WORD_1 src1_sel:DWORD
	v_mul_f16_sdwa v31, v147, v32 dst_sel:DWORD dst_unused:UNUSED_PAD src0_sel:WORD_1 src1_sel:DWORD
	v_fma_f16 v30, v147, v32, v30
	v_fma_f16 v29, v147, v29, -v31
	v_lshrrev_b32_e32 v31, 16, v40
	v_mul_f16_sdwa v32, v146, v40 dst_sel:DWORD dst_unused:UNUSED_PAD src0_sel:WORD_1 src1_sel:DWORD
	v_fma_f16 v32, v146, v31, -v32
	v_mul_f16_sdwa v31, v146, v31 dst_sel:DWORD dst_unused:UNUSED_PAD src0_sel:WORD_1 src1_sel:DWORD
	v_lshrrev_b32_e32 v35, 16, v41
	v_fma_f16 v31, v146, v40, v31
	v_mul_f16_sdwa v40, v145, v35 dst_sel:DWORD dst_unused:UNUSED_PAD src0_sel:WORD_1 src1_sel:DWORD
	v_fma_f16 v40, v145, v41, v40
	v_mul_f16_sdwa v41, v145, v41 dst_sel:DWORD dst_unused:UNUSED_PAD src0_sel:WORD_1 src1_sel:DWORD
	v_fma_f16 v35, v145, v35, -v41
	v_add_f16_e32 v41, v49, v51
	v_fma_f16 v41, v41, -0.5, v33
	v_sub_f16_e32 v42, v48, v50
	v_fma_f16 v43, v42, s18, v41
	v_fma_f16 v41, v42, s17, v41
	v_lshrrev_b32_e32 v42, 16, v33
	v_add_f16_e32 v45, v48, v50
	v_add_f16_e32 v44, v42, v48
	v_fma_f16 v42, v45, -0.5, v42
	v_sub_f16_e32 v45, v49, v51
	v_fma_f16 v46, v45, s17, v42
	v_fma_f16 v42, v45, s18, v42
	v_add_f16_e32 v45, v24, v30
	v_fma_f16 v45, v45, -0.5, v8
	v_sub_f16_e32 v47, v28, v29
	v_fma_f16 v48, v47, s18, v45
	v_fma_f16 v45, v47, s17, v45
	v_add_f16_e32 v47, v10, v28
	v_add_f16_e32 v28, v28, v29
	v_fma_f16 v10, v28, -0.5, v10
	v_add_f16_e32 v8, v8, v24
	v_sub_f16_e32 v24, v24, v30
	v_fma_f16 v28, v24, s17, v10
	v_fma_f16 v10, v24, s18, v10
	v_add_f16_e32 v47, v47, v29
	v_mul_f16_e32 v24, 0xbaee, v28
	v_mul_f16_e32 v28, 0.5, v28
	v_mul_f16_e32 v29, 0xbaee, v10
	v_mul_f16_e32 v10, -0.5, v10
	v_add_f16_e32 v33, v33, v49
	v_fma_f16 v28, v48, s17, v28
	v_fma_f16 v10, v45, s17, v10
	v_add_f16_e32 v44, v44, v50
	v_add_f16_e32 v33, v33, v51
	v_add_f16_e32 v8, v8, v30
	v_fma_f16 v24, v48, 0.5, v24
	v_fma_f16 v29, v45, -0.5, v29
	v_add_f16_e32 v45, v46, v28
	v_sub_f16_e32 v28, v46, v28
	v_add_f16_e32 v46, v42, v10
	v_sub_f16_e32 v10, v42, v10
	v_add_f16_e32 v42, v7, v18
	v_add_f16_e32 v30, v33, v8
	v_sub_f16_e32 v8, v33, v8
	v_add_f16_e32 v33, v43, v24
	v_sub_f16_e32 v24, v43, v24
	;; [unrolled: 2-line block ×4, first 2 shown]
	v_fma_f16 v42, v42, -0.5, v34
	v_lshrrev_b32_e32 v47, 16, v34
	v_sub_f16_e32 v48, v9, v27
	v_fma_f16 v49, v48, s18, v42
	v_fma_f16 v42, v48, s17, v42
	v_add_f16_e32 v48, v47, v9
	v_add_f16_e32 v9, v9, v27
	;; [unrolled: 1-line block ×3, first 2 shown]
	v_fma_f16 v9, v9, -0.5, v47
	v_sub_f16_e32 v7, v7, v18
	v_add_f16_e32 v48, v48, v27
	v_add_f16_e32 v27, v34, v18
	v_fma_f16 v18, v7, s17, v9
	v_fma_f16 v7, v7, s18, v9
	v_add_f16_e32 v9, v25, v31
	v_fma_f16 v9, v9, -0.5, v17
	v_sub_f16_e32 v34, v26, v32
	v_fma_f16 v47, v34, s18, v9
	v_fma_f16 v9, v34, s17, v9
	v_add_f16_e32 v34, v11, v26
	v_add_f16_e32 v26, v26, v32
	v_fma_f16 v11, v26, -0.5, v11
	v_add_f16_e32 v17, v17, v25
	v_sub_f16_e32 v25, v25, v31
	v_fma_f16 v26, v25, s17, v11
	v_fma_f16 v11, v25, s18, v11
	v_add_f16_e32 v17, v17, v31
	v_mul_f16_e32 v25, 0xbaee, v26
	v_mul_f16_e32 v26, 0.5, v26
	v_mul_f16_e32 v31, 0xbaee, v11
	v_mul_f16_e32 v11, -0.5, v11
	v_fma_f16 v26, v47, s17, v26
	v_fma_f16 v31, v9, -0.5, v31
	v_fma_f16 v9, v9, s17, v11
	v_add_f16_e32 v34, v34, v32
	v_fma_f16 v25, v47, 0.5, v25
	v_add_f16_e32 v47, v18, v26
	v_sub_f16_e32 v18, v18, v26
	v_add_f16_e32 v26, v7, v9
	v_sub_f16_e32 v7, v7, v9
	v_add_f16_e32 v9, v4, v16
	v_add_f16_e32 v11, v27, v17
	v_sub_f16_e32 v17, v27, v17
	v_add_f16_e32 v27, v49, v25
	v_sub_f16_e32 v25, v49, v25
	;; [unrolled: 2-line block ×4, first 2 shown]
	v_fma_f16 v9, v9, -0.5, v0
	v_lshrrev_b32_e32 v48, 16, v0
	v_sub_f16_e32 v49, v6, v19
	v_fma_f16 v50, v49, s18, v9
	v_fma_f16 v9, v49, s17, v9
	v_add_f16_e32 v49, v48, v6
	v_add_f16_e32 v6, v6, v19
	;; [unrolled: 1-line block ×3, first 2 shown]
	v_fma_f16 v6, v6, -0.5, v48
	v_sub_f16_e32 v4, v4, v16
	v_add_f16_e32 v0, v0, v16
	v_fma_f16 v16, v4, s17, v6
	v_fma_f16 v4, v4, s18, v6
	v_add_f16_e32 v6, v3, v40
	v_add_f16_e32 v49, v49, v19
	v_fma_f16 v6, v6, -0.5, v1
	v_sub_f16_e32 v19, v5, v35
	v_fma_f16 v48, v19, s18, v6
	v_fma_f16 v6, v19, s17, v6
	v_add_f16_e32 v19, v2, v5
	v_add_f16_e32 v5, v5, v35
	v_fma_f16 v2, v5, -0.5, v2
	v_add_f16_e32 v1, v1, v3
	v_sub_f16_e32 v3, v3, v40
	v_fma_f16 v5, v3, s17, v2
	v_fma_f16 v2, v3, s18, v2
	v_add_f16_e32 v19, v19, v35
	v_mul_f16_e32 v3, 0xbaee, v5
	v_mul_f16_e32 v5, 0.5, v5
	v_mul_f16_e32 v35, 0xbaee, v2
	v_mul_f16_e32 v2, -0.5, v2
	v_add_f16_e32 v68, v66, v65
	v_add_f16_e32 v69, v67, v54
	v_fma_f16 v5, v48, s17, v5
	v_fma_f16 v2, v6, s17, v2
	v_pack_b32_f16 v68, v68, v69
	v_fma_f16 v3, v48, 0.5, v3
	v_add_f16_e32 v48, v16, v5
	v_sub_f16_e32 v5, v16, v5
	v_add_f16_e32 v16, v4, v2
	v_sub_f16_e32 v2, v4, v2
	v_pack_b32_f16 v4, v30, v41
	v_pack_b32_f16 v30, v33, v45
	ds_write2_b32 v153, v55, v68 offset1:100
	ds_write2_b32 v139, v4, v30 offset1:100
	v_pack_b32_f16 v4, v43, v46
	v_pack_b32_f16 v8, v8, v44
	ds_write2_b32 v133, v4, v8 offset0:72 offset1:172
	v_pack_b32_f16 v4, v24, v28
	v_pack_b32_f16 v8, v29, v10
	ds_write2_b32 v134, v4, v8 offset0:144 offset1:244
	v_pack_b32_f16 v4, v11, v42
	v_pack_b32_f16 v8, v27, v47
	v_add_f16_e32 v1, v1, v40
	v_fma_f16 v35, v6, -0.5, v35
	ds_write2_b32 v136, v4, v8 offset1:100
	v_pack_b32_f16 v4, v32, v26
	v_pack_b32_f16 v8, v17, v34
	v_add_f16_e32 v6, v0, v1
	v_sub_f16_e32 v0, v0, v1
	v_add_f16_e32 v1, v50, v3
	v_add_f16_e32 v40, v9, v35
	v_sub_f16_e32 v9, v9, v35
	v_add_f16_e32 v35, v49, v19
	ds_write2_b32 v137, v4, v8 offset0:72 offset1:172
	v_pack_b32_f16 v4, v25, v18
	v_pack_b32_f16 v7, v31, v7
	v_sub_f16_e32 v19, v49, v19
	ds_write2_b32 v138, v4, v7 offset0:144 offset1:244
	v_pack_b32_f16 v4, v6, v35
	v_pack_b32_f16 v1, v1, v48
	v_sub_f16_e32 v3, v50, v3
	ds_write2_b32 v142, v4, v1 offset1:100
	v_pack_b32_f16 v1, v40, v16
	v_pack_b32_f16 v0, v0, v19
	ds_write2_b32 v143, v1, v0 offset0:72 offset1:172
	v_pack_b32_f16 v0, v3, v5
	v_pack_b32_f16 v1, v9, v2
	ds_write2_b32 v144, v0, v1 offset0:144 offset1:244
	s_waitcnt lgkmcnt(0)
	s_barrier
	ds_read2_b32 v[2:3], v113 offset1:120
	ds_read2_b32 v[0:1], v99 offset0:96 offset1:216
	ds_read2_b32 v[4:5], v97 offset0:48 offset1:168
	;; [unrolled: 1-line block ×7, first 2 shown]
	s_waitcnt lgkmcnt(6)
	v_lshrrev_b32_e32 v33, 16, v1
	v_mul_f16_sdwa v53, v20, v33 dst_sel:DWORD dst_unused:UNUSED_PAD src0_sel:WORD_1 src1_sel:DWORD
	s_waitcnt lgkmcnt(5)
	v_lshrrev_b32_e32 v34, 16, v4
	v_fma_f16 v53, v20, v1, v53
	v_mul_f16_sdwa v1, v20, v1 dst_sel:DWORD dst_unused:UNUSED_PAD src0_sel:WORD_1 src1_sel:DWORD
	v_fma_f16 v1, v20, v33, -v1
	v_mul_f16_sdwa v20, v21, v34 dst_sel:DWORD dst_unused:UNUSED_PAD src0_sel:WORD_1 src1_sel:DWORD
	s_waitcnt lgkmcnt(4)
	v_lshrrev_b32_e32 v35, 16, v7
	v_fma_f16 v20, v21, v4, v20
	v_mul_f16_sdwa v4, v21, v4 dst_sel:DWORD dst_unused:UNUSED_PAD src0_sel:WORD_1 src1_sel:DWORD
	v_fma_f16 v21, v21, v34, -v4
	v_mul_f16_sdwa v4, v22, v35 dst_sel:DWORD dst_unused:UNUSED_PAD src0_sel:WORD_1 src1_sel:DWORD
	v_fma_f16 v33, v22, v7, v4
	v_mul_f16_sdwa v4, v22, v7 dst_sel:DWORD dst_unused:UNUSED_PAD src0_sel:WORD_1 src1_sel:DWORD
	s_waitcnt lgkmcnt(3)
	v_lshrrev_b32_e32 v40, 16, v8
	v_fma_f16 v22, v22, v35, -v4
	v_mul_f16_sdwa v4, v23, v8 dst_sel:DWORD dst_unused:UNUSED_PAD src0_sel:WORD_1 src1_sel:DWORD
	v_lshrrev_b32_e32 v44, 16, v5
	v_lshrrev_b32_e32 v46, 16, v9
	v_fma_f16 v34, v23, v40, -v4
	v_mul_f16_sdwa v4, v23, v40 dst_sel:DWORD dst_unused:UNUSED_PAD src0_sel:WORD_1 src1_sel:DWORD
	v_mul_f16_sdwa v7, v13, v5 dst_sel:DWORD dst_unused:UNUSED_PAD src0_sel:WORD_1 src1_sel:DWORD
	ds_read2_b32 v[28:29], v116 offset0:32 offset1:152
	v_fma_f16 v23, v23, v8, v4
	v_mul_f16_sdwa v4, v13, v44 dst_sel:DWORD dst_unused:UNUSED_PAD src0_sel:WORD_1 src1_sel:DWORD
	v_fma_f16 v44, v13, v44, -v7
	v_mul_f16_sdwa v7, v15, v46 dst_sel:DWORD dst_unused:UNUSED_PAD src0_sel:WORD_1 src1_sel:DWORD
	v_fma_f16 v55, v15, v9, v7
	v_mul_f16_sdwa v7, v15, v9 dst_sel:DWORD dst_unused:UNUSED_PAD src0_sel:WORD_1 src1_sel:DWORD
	s_waitcnt lgkmcnt(2)
	v_lshrrev_b32_e32 v43, 16, v16
	s_waitcnt lgkmcnt(1)
	v_lshrrev_b32_e32 v45, 16, v18
	ds_read2_b32 v[30:31], v93 offset0:80 offset1:200
	v_mul_f16_sdwa v8, v12, v16 dst_sel:DWORD dst_unused:UNUSED_PAD src0_sel:WORD_1 src1_sel:DWORD
	v_fma_f16 v15, v15, v46, -v7
	v_mul_f16_sdwa v7, v14, v18 dst_sel:DWORD dst_unused:UNUSED_PAD src0_sel:WORD_1 src1_sel:DWORD
	v_lshrrev_b32_e32 v49, 16, v17
	v_fma_f16 v9, v12, v43, -v8
	v_mul_f16_sdwa v8, v12, v43 dst_sel:DWORD dst_unused:UNUSED_PAD src0_sel:WORD_1 src1_sel:DWORD
	v_fma_f16 v43, v14, v45, -v7
	v_mul_f16_sdwa v7, v14, v45 dst_sel:DWORD dst_unused:UNUSED_PAD src0_sel:WORD_1 src1_sel:DWORD
	v_lshrrev_b32_e32 v51, 16, v19
	v_fma_f16 v16, v12, v16, v8
	v_fma_f16 v14, v14, v18, v7
	v_mul_f16_sdwa v7, v36, v49 dst_sel:DWORD dst_unused:UNUSED_PAD src0_sel:WORD_1 src1_sel:DWORD
	v_mul_f16_sdwa v12, v36, v17 dst_sel:DWORD dst_unused:UNUSED_PAD src0_sel:WORD_1 src1_sel:DWORD
	s_waitcnt lgkmcnt(1)
	v_lshrrev_b32_e32 v50, 16, v28
	v_fma_f16 v54, v13, v5, v4
	v_fma_f16 v46, v36, v17, v7
	v_fma_f16 v17, v36, v49, -v12
	v_mul_f16_sdwa v12, v38, v51 dst_sel:DWORD dst_unused:UNUSED_PAD src0_sel:WORD_1 src1_sel:DWORD
	v_mul_f16_sdwa v13, v37, v28 dst_sel:DWORD dst_unused:UNUSED_PAD src0_sel:WORD_1 src1_sel:DWORD
	ds_read2_b32 v[4:5], v117 offset0:64 offset1:184
	v_fma_f16 v36, v38, v19, v12
	v_mul_f16_sdwa v12, v38, v19 dst_sel:DWORD dst_unused:UNUSED_PAD src0_sel:WORD_1 src1_sel:DWORD
	v_fma_f16 v19, v37, v50, -v13
	v_mul_f16_sdwa v13, v37, v50 dst_sel:DWORD dst_unused:UNUSED_PAD src0_sel:WORD_1 src1_sel:DWORD
	s_waitcnt lgkmcnt(1)
	v_lshrrev_b32_e32 v52, 16, v30
	v_fma_f16 v28, v37, v28, v13
	v_fma_f16 v37, v38, v51, -v12
	v_mul_f16_sdwa v12, v39, v30 dst_sel:DWORD dst_unused:UNUSED_PAD src0_sel:WORD_1 src1_sel:DWORD
	v_lshrrev_b32_e32 v45, 16, v29
	ds_read2_b32 v[7:8], v114 offset0:112 offset1:232
	v_fma_f16 v38, v39, v52, -v12
	v_mul_f16_sdwa v12, v39, v52 dst_sel:DWORD dst_unused:UNUSED_PAD src0_sel:WORD_1 src1_sel:DWORD
	v_fma_f16 v30, v39, v30, v12
	v_mul_f16_sdwa v12, v57, v45 dst_sel:DWORD dst_unused:UNUSED_PAD src0_sel:WORD_1 src1_sel:DWORD
	v_lshrrev_b32_e32 v49, 16, v31
	v_fma_f16 v50, v57, v29, v12
	v_mul_f16_sdwa v29, v57, v29 dst_sel:DWORD dst_unused:UNUSED_PAD src0_sel:WORD_1 src1_sel:DWORD
	s_waitcnt lgkmcnt(1)
	v_lshrrev_b32_e32 v18, 16, v4
	v_fma_f16 v29, v57, v45, -v29
	v_mul_f16_sdwa v45, v59, v49 dst_sel:DWORD dst_unused:UNUSED_PAD src0_sel:WORD_1 src1_sel:DWORD
	v_mul_f16_sdwa v51, v56, v4 dst_sel:DWORD dst_unused:UNUSED_PAD src0_sel:WORD_1 src1_sel:DWORD
	ds_read2_b32 v[12:13], v87 offset0:32 offset1:152
	v_fma_f16 v45, v59, v31, v45
	v_mul_f16_sdwa v31, v59, v31 dst_sel:DWORD dst_unused:UNUSED_PAD src0_sel:WORD_1 src1_sel:DWORD
	v_fma_f16 v51, v56, v18, -v51
	v_mul_f16_sdwa v18, v56, v18 dst_sel:DWORD dst_unused:UNUSED_PAD src0_sel:WORD_1 src1_sel:DWORD
	ds_read2_b32 v[24:25], v107 offset0:48 offset1:168
	s_waitcnt lgkmcnt(2)
	v_lshrrev_b32_e32 v39, 16, v7
	v_fma_f16 v4, v56, v4, v18
	v_fma_f16 v18, v59, v49, -v31
	v_mul_f16_sdwa v31, v58, v7 dst_sel:DWORD dst_unused:UNUSED_PAD src0_sel:WORD_1 src1_sel:DWORD
	v_fma_f16 v31, v58, v39, -v31
	v_mul_f16_sdwa v39, v58, v39 dst_sel:DWORD dst_unused:UNUSED_PAD src0_sel:WORD_1 src1_sel:DWORD
	v_lshrrev_b32_e32 v41, 16, v11
	v_fma_f16 v7, v58, v7, v39
	v_mul_f16_sdwa v58, v140, v11 dst_sel:DWORD dst_unused:UNUSED_PAD src0_sel:WORD_1 src1_sel:DWORD
	v_fma_f16 v58, v140, v41, -v58
	v_mul_f16_sdwa v41, v140, v41 dst_sel:DWORD dst_unused:UNUSED_PAD src0_sel:WORD_1 src1_sel:DWORD
	s_waitcnt lgkmcnt(1)
	v_lshrrev_b32_e32 v39, 16, v12
	v_fma_f16 v11, v140, v11, v41
	v_mul_f16_sdwa v41, v159, v12 dst_sel:DWORD dst_unused:UNUSED_PAD src0_sel:WORD_1 src1_sel:DWORD
	s_waitcnt lgkmcnt(0)
	v_lshrrev_b32_e32 v47, 16, v24
	v_lshrrev_b32_e32 v52, 16, v5
	v_mul_f16_sdwa v56, v141, v24 dst_sel:DWORD dst_unused:UNUSED_PAD src0_sel:WORD_1 src1_sel:DWORD
	v_fma_f16 v41, v159, v39, -v41
	v_mul_f16_sdwa v39, v159, v39 dst_sel:DWORD dst_unused:UNUSED_PAD src0_sel:WORD_1 src1_sel:DWORD
	v_lshrrev_b32_e32 v35, 16, v25
	v_fma_f16 v56, v141, v47, -v56
	v_mul_f16_sdwa v47, v141, v47 dst_sel:DWORD dst_unused:UNUSED_PAD src0_sel:WORD_1 src1_sel:DWORD
	v_fma_f16 v12, v159, v12, v39
	v_mul_f16_sdwa v39, v60, v52 dst_sel:DWORD dst_unused:UNUSED_PAD src0_sel:WORD_1 src1_sel:DWORD
	v_fma_f16 v24, v141, v24, v47
	v_mul_f16_sdwa v47, v157, v35 dst_sel:DWORD dst_unused:UNUSED_PAD src0_sel:WORD_1 src1_sel:DWORD
	v_lshrrev_b32_e32 v57, 16, v6
	v_fma_f16 v39, v60, v5, v39
	v_mul_f16_sdwa v5, v60, v5 dst_sel:DWORD dst_unused:UNUSED_PAD src0_sel:WORD_1 src1_sel:DWORD
	v_fma_f16 v47, v157, v25, v47
	v_mul_f16_sdwa v25, v157, v25 dst_sel:DWORD dst_unused:UNUSED_PAD src0_sel:WORD_1 src1_sel:DWORD
	v_fma_f16 v5, v60, v52, -v5
	v_mul_f16_sdwa v52, v61, v57 dst_sel:DWORD dst_unused:UNUSED_PAD src0_sel:WORD_1 src1_sel:DWORD
	v_fma_f16 v25, v157, v35, -v25
	v_lshrrev_b32_e32 v35, 16, v8
	v_fma_f16 v52, v61, v6, v52
	v_mul_f16_sdwa v6, v61, v6 dst_sel:DWORD dst_unused:UNUSED_PAD src0_sel:WORD_1 src1_sel:DWORD
	v_fma_f16 v6, v61, v57, -v6
	v_mul_f16_sdwa v57, v62, v35 dst_sel:DWORD dst_unused:UNUSED_PAD src0_sel:WORD_1 src1_sel:DWORD
	v_lshrrev_b32_e32 v59, 16, v10
	v_fma_f16 v57, v62, v8, v57
	v_mul_f16_sdwa v8, v62, v8 dst_sel:DWORD dst_unused:UNUSED_PAD src0_sel:WORD_1 src1_sel:DWORD
	v_fma_f16 v8, v62, v35, -v8
	v_mul_f16_sdwa v35, v63, v59 dst_sel:DWORD dst_unused:UNUSED_PAD src0_sel:WORD_1 src1_sel:DWORD
	;; [unrolled: 5-line block ×3, first 2 shown]
	v_fma_f16 v59, v160, v13, v59
	v_mul_f16_sdwa v13, v160, v13 dst_sel:DWORD dst_unused:UNUSED_PAD src0_sel:WORD_1 src1_sel:DWORD
	v_add_f16_e32 v61, v20, v23
	v_lshrrev_b32_e32 v32, 16, v2
	v_fma_f16 v13, v160, v60, -v13
	v_add_f16_e32 v60, v2, v20
	v_fma_f16 v2, v61, -0.5, v2
	v_sub_f16_e32 v61, v21, v34
	v_fma_f16 v62, v61, s18, v2
	v_fma_f16 v2, v61, s17, v2
	v_add_f16_e32 v61, v32, v21
	v_add_f16_e32 v21, v21, v34
	v_fma_f16 v21, v21, -0.5, v32
	v_add_f16_e32 v32, v33, v11
	v_add_f16_e32 v61, v61, v34
	v_sub_f16_e32 v20, v20, v23
	v_fma_f16 v32, v32, -0.5, v53
	v_sub_f16_e32 v34, v22, v58
	v_add_f16_e32 v60, v60, v23
	v_fma_f16 v23, v20, s17, v21
	v_fma_f16 v20, v20, s18, v21
	v_add_f16_e32 v21, v53, v33
	v_fma_f16 v53, v34, s18, v32
	v_fma_f16 v32, v34, s17, v32
	v_add_f16_e32 v34, v1, v22
	v_add_f16_e32 v22, v22, v58
	;; [unrolled: 1-line block ×3, first 2 shown]
	v_fma_f16 v1, v22, -0.5, v1
	v_sub_f16_e32 v11, v33, v11
	v_fma_f16 v22, v11, s17, v1
	v_fma_f16 v1, v11, s18, v1
	v_mul_f16_e32 v33, 0xbaee, v22
	v_mul_f16_e32 v22, 0.5, v22
	v_mul_f16_e32 v63, 0xbaee, v1
	v_fma_f16 v22, v53, s17, v22
	v_mul_f16_e32 v1, -0.5, v1
	v_fma_f16 v33, v53, 0.5, v33
	v_add_f16_e32 v53, v23, v22
	v_fma_f16 v1, v32, s17, v1
	v_sub_f16_e32 v22, v23, v22
	v_add_f16_e32 v23, v54, v55
	v_lshrrev_b32_e32 v42, 16, v3
	v_fma_f16 v63, v32, -0.5, v63
	v_add_f16_e32 v32, v20, v1
	v_sub_f16_e32 v1, v20, v1
	v_add_f16_e32 v20, v3, v54
	v_fma_f16 v3, v23, -0.5, v3
	v_sub_f16_e32 v23, v44, v15
	v_add_f16_e32 v11, v60, v21
	v_sub_f16_e32 v21, v60, v21
	v_fma_f16 v60, v23, s18, v3
	v_fma_f16 v3, v23, s17, v3
	v_add_f16_e32 v23, v42, v44
	v_add_f16_e32 v23, v23, v15
	;; [unrolled: 1-line block ×3, first 2 shown]
	v_fma_f16 v15, v15, -0.5, v42
	v_sub_f16_e32 v42, v54, v55
	v_add_f16_e32 v54, v14, v24
	v_fma_f16 v44, v42, s17, v15
	v_fma_f16 v15, v42, s18, v15
	v_add_f16_e32 v42, v16, v14
	v_fma_f16 v16, v54, -0.5, v16
	v_sub_f16_e32 v54, v43, v56
	v_add_f16_e32 v20, v20, v55
	v_fma_f16 v55, v54, s18, v16
	v_fma_f16 v16, v54, s17, v16
	v_add_f16_e32 v54, v9, v43
	v_add_f16_e32 v43, v43, v56
	ds_read2_b32 v[26:27], v119 offset0:112 offset1:232
	v_fma_f16 v9, v43, -0.5, v9
	v_sub_f16_e32 v14, v14, v24
	v_add_f16_e32 v42, v42, v24
	v_fma_f16 v24, v14, s17, v9
	v_add_f16_e32 v34, v34, v58
	v_fma_f16 v9, v14, s18, v9
	v_mul_f16_e32 v43, 0xbaee, v24
	v_add_f16_e32 v66, v61, v34
	v_sub_f16_e32 v34, v61, v34
	v_fma_f16 v43, v55, 0.5, v43
	v_mul_f16_e32 v61, 0xbaee, v9
	v_mul_f16_e32 v9, -0.5, v9
	v_add_f16_e32 v54, v54, v56
	v_add_f16_e32 v14, v20, v42
	;; [unrolled: 1-line block ×3, first 2 shown]
	v_mul_f16_e32 v24, 0.5, v24
	v_fma_f16 v9, v16, s17, v9
	v_sub_f16_e32 v20, v20, v42
	v_sub_f16_e32 v42, v60, v43
	v_add_f16_e32 v43, v28, v30
	s_waitcnt lgkmcnt(0)
	v_lshrrev_b32_e32 v48, 16, v26
	v_fma_f16 v61, v16, -0.5, v61
	v_fma_f16 v24, v55, s17, v24
	v_add_f16_e32 v16, v15, v9
	v_sub_f16_e32 v9, v15, v9
	v_add_f16_e32 v15, v26, v28
	v_fma_f16 v26, v43, -0.5, v26
	v_sub_f16_e32 v43, v19, v38
	v_add_f16_e32 v55, v44, v24
	v_sub_f16_e32 v24, v44, v24
	v_fma_f16 v44, v43, s18, v26
	v_fma_f16 v26, v43, s17, v26
	v_add_f16_e32 v43, v48, v19
	v_add_f16_e32 v19, v19, v38
	;; [unrolled: 1-line block ×3, first 2 shown]
	v_fma_f16 v19, v19, -0.5, v48
	v_sub_f16_e32 v28, v28, v30
	v_add_f16_e32 v38, v36, v47
	v_add_f16_e32 v15, v15, v30
	v_fma_f16 v30, v28, s17, v19
	v_fma_f16 v19, v28, s18, v19
	v_add_f16_e32 v28, v46, v36
	v_fma_f16 v38, v38, -0.5, v46
	v_sub_f16_e32 v46, v37, v25
	v_fma_f16 v48, v46, s18, v38
	v_fma_f16 v38, v46, s17, v38
	v_add_f16_e32 v46, v17, v37
	v_add_f16_e32 v46, v46, v25
	;; [unrolled: 1-line block ×3, first 2 shown]
	v_fma_f16 v17, v25, -0.5, v17
	v_sub_f16_e32 v25, v36, v47
	v_fma_f16 v36, v25, s17, v17
	v_fma_f16 v17, v25, s18, v17
	v_mul_f16_e32 v37, 0xbaee, v36
	v_mul_f16_e32 v36, 0.5, v36
	v_add_f16_e32 v65, v2, v63
	v_sub_f16_e32 v2, v2, v63
	v_add_f16_e32 v63, v23, v54
	v_sub_f16_e32 v23, v23, v54
	v_mul_f16_e32 v54, 0xbaee, v17
	v_fma_f16 v36, v48, s17, v36
	v_mul_f16_e32 v17, -0.5, v17
	v_fma_f16 v37, v48, 0.5, v37
	v_add_f16_e32 v48, v30, v36
	v_fma_f16 v17, v38, s17, v17
	v_sub_f16_e32 v30, v30, v36
	v_add_f16_e32 v36, v50, v45
	v_lshrrev_b32_e32 v40, 16, v27
	v_add_f16_e32 v28, v28, v47
	v_fma_f16 v54, v38, -0.5, v54
	v_add_f16_e32 v38, v19, v17
	v_sub_f16_e32 v17, v19, v17
	v_add_f16_e32 v19, v27, v50
	v_fma_f16 v27, v36, -0.5, v27
	v_sub_f16_e32 v36, v29, v18
	v_add_f16_e32 v58, v62, v33
	v_sub_f16_e32 v33, v62, v33
	v_add_f16_e32 v62, v3, v61
	;; [unrolled: 2-line block ×3, first 2 shown]
	v_add_f16_e32 v47, v44, v37
	v_add_f16_e32 v61, v43, v46
	v_sub_f16_e32 v15, v15, v28
	v_sub_f16_e32 v28, v44, v37
	;; [unrolled: 1-line block ×3, first 2 shown]
	v_fma_f16 v43, v36, s18, v27
	v_fma_f16 v27, v36, s17, v27
	v_add_f16_e32 v36, v40, v29
	v_add_f16_e32 v36, v36, v18
	v_add_f16_e32 v18, v29, v18
	v_fma_f16 v18, v18, -0.5, v40
	v_sub_f16_e32 v29, v50, v45
	v_add_f16_e32 v44, v7, v12
	v_fma_f16 v40, v29, s17, v18
	v_fma_f16 v18, v29, s18, v18
	v_add_f16_e32 v29, v4, v7
	v_fma_f16 v4, v44, -0.5, v4
	v_sub_f16_e32 v44, v31, v41
	v_add_f16_e32 v19, v19, v45
	v_fma_f16 v45, v44, s18, v4
	v_fma_f16 v4, v44, s17, v4
	v_add_f16_e32 v44, v51, v31
	v_add_f16_e32 v31, v31, v41
	v_fma_f16 v31, v31, -0.5, v51
	v_sub_f16_e32 v7, v7, v12
	v_add_f16_e32 v29, v29, v12
	v_fma_f16 v12, v7, s17, v31
	v_add_f16_e32 v44, v44, v41
	v_fma_f16 v7, v7, s18, v31
	v_mul_f16_e32 v41, 0xbaee, v12
	v_mul_f16_e32 v12, 0.5, v12
	v_mul_f16_e32 v50, 0xbaee, v7
	v_fma_f16 v12, v45, s17, v12
	v_mul_f16_e32 v7, -0.5, v7
	v_fma_f16 v41, v45, 0.5, v41
	v_fma_f16 v50, v4, -0.5, v50
	v_add_f16_e32 v45, v40, v12
	v_fma_f16 v4, v4, s17, v7
	v_sub_f16_e32 v12, v40, v12
	v_add_f16_e32 v40, v52, v35
	v_lshrrev_b32_e32 v49, 16, v0
	v_add_f16_e32 v7, v18, v4
	v_sub_f16_e32 v4, v18, v4
	v_add_f16_e32 v18, v0, v52
	v_fma_f16 v0, v40, -0.5, v0
	v_sub_f16_e32 v40, v6, v10
	v_add_f16_e32 v31, v19, v29
	v_add_f16_e32 v46, v43, v41
	v_sub_f16_e32 v19, v19, v29
	v_sub_f16_e32 v29, v43, v41
	v_fma_f16 v41, v40, s18, v0
	v_fma_f16 v0, v40, s17, v0
	v_add_f16_e32 v40, v49, v6
	v_add_f16_e32 v6, v6, v10
	;; [unrolled: 1-line block ×3, first 2 shown]
	v_fma_f16 v6, v6, -0.5, v49
	v_sub_f16_e32 v10, v52, v35
	v_add_f16_e32 v43, v57, v59
	v_add_f16_e32 v18, v18, v35
	v_fma_f16 v35, v10, s17, v6
	v_fma_f16 v6, v10, s18, v6
	v_add_f16_e32 v10, v39, v57
	v_fma_f16 v39, v43, -0.5, v39
	v_sub_f16_e32 v43, v8, v13
	v_add_f16_e32 v60, v26, v54
	v_sub_f16_e32 v26, v26, v54
	v_add_f16_e32 v54, v36, v44
	v_sub_f16_e32 v36, v36, v44
	v_fma_f16 v44, v43, s18, v39
	v_fma_f16 v39, v43, s17, v39
	v_add_f16_e32 v43, v5, v8
	v_add_f16_e32 v8, v8, v13
	v_fma_f16 v5, v8, -0.5, v5
	v_sub_f16_e32 v8, v57, v59
	v_add_f16_e32 v43, v43, v13
	v_fma_f16 v13, v8, s17, v5
	v_fma_f16 v5, v8, s18, v5
	v_mul_f16_e32 v52, 0xbaee, v5
	v_mul_f16_e32 v5, -0.5, v5
	v_fma_f16 v5, v39, s17, v5
	v_fma_f16 v52, v39, -0.5, v52
	v_add_f16_e32 v39, v6, v5
	v_sub_f16_e32 v5, v6, v5
	v_pack_b32_f16 v6, v11, v66
	v_pack_b32_f16 v11, v58, v53
	ds_write_b32 v113, v11 offset:2400
	v_pack_b32_f16 v11, v65, v32
	ds_write_b32 v113, v11 offset:4800
	v_pack_b32_f16 v11, v21, v34
	v_pack_b32_f16 v1, v2, v1
	ds_write_b32 v113, v11 offset:7200
	v_pack_b32_f16 v11, v33, v22
	ds_write_b32 v113, v1 offset:12000
	;; [unrolled: 2-line block ×3, first 2 shown]
	ds_write2_b32 v113, v6, v1 offset1:120
	v_pack_b32_f16 v1, v56, v55
	v_pack_b32_f16 v6, v20, v23
	;; [unrolled: 1-line block ×4, first 2 shown]
	ds_write_b32 v113, v6 offset:7680
	ds_write2_b32 v118, v1, v11 offset0:80 offset1:200
	v_pack_b32_f16 v1, v60, v38
	v_pack_b32_f16 v6, v42, v24
	ds_write2_b32 v70, v2, v1 offset0:40 offset1:160
	v_pack_b32_f16 v2, v28, v30
	v_add_f16_e32 v51, v27, v50
	v_pack_b32_f16 v3, v3, v9
	ds_write2_b32 v156, v6, v2 offset0:88 offset1:208
	v_pack_b32_f16 v2, v26, v17
	v_pack_b32_f16 v9, v25, v61
	ds_write2_b32 v107, v3, v2 offset0:48 offset1:168
	v_pack_b32_f16 v2, v31, v54
	v_pack_b32_f16 v3, v51, v7
	;; [unrolled: 1-line block ×3, first 2 shown]
	ds_write2_b32 v119, v9, v2 offset0:112 offset1:232
	ds_write_b32 v113, v3 offset:6240
	v_pack_b32_f16 v3, v19, v36
	v_sub_f16_e32 v27, v27, v50
	v_add_f16_e32 v10, v10, v59
	v_mul_f16_e32 v49, 0xbaee, v13
	v_mul_f16_e32 v13, 0.5, v13
	ds_write2_b32 v158, v1, v3 offset0:120 offset1:240
	v_pack_b32_f16 v1, v29, v12
	v_add_f16_e32 v8, v18, v10
	v_fma_f16 v49, v44, 0.5, v49
	v_add_f16_e32 v59, v40, v43
	v_fma_f16 v13, v44, s17, v13
	ds_write_b32 v113, v1 offset:11040
	v_pack_b32_f16 v1, v27, v4
	v_add_f16_e32 v50, v41, v49
	v_add_f16_e32 v44, v35, v13
	ds_write_b32 v113, v1 offset:13440
	v_pack_b32_f16 v1, v8, v59
	v_add_f16_e32 v57, v0, v52
	v_pack_b32_f16 v2, v46, v45
	ds_write_b32 v113, v1 offset:1920
	v_pack_b32_f16 v1, v50, v44
	v_sub_f16_e32 v10, v18, v10
	v_sub_f16_e32 v40, v40, v43
	ds_write2_b32 v117, v2, v1 offset0:64 offset1:184
	v_pack_b32_f16 v1, v57, v39
	v_sub_f16_e32 v18, v41, v49
	v_sub_f16_e32 v0, v0, v52
	v_sub_f16_e32 v13, v35, v13
	ds_write_b32 v113, v1 offset:6720
	v_pack_b32_f16 v1, v10, v40
	ds_write_b32 v113, v1 offset:9120
	v_pack_b32_f16 v1, v18, v13
	v_pack_b32_f16 v0, v0, v5
	ds_write_b32 v113, v1 offset:11520
	ds_write_b32 v113, v0 offset:13920
	s_waitcnt lgkmcnt(0)
	s_barrier
	ds_read2_b32 v[5:6], v113 offset1:120
	s_mov_b32 s3, 0x3f323456
	v_mad_u64_u32 v[2:3], s[0:1], s10, v64, 0
	v_mov_b32_e32 v15, 0x7c00
	s_waitcnt lgkmcnt(0)
	v_lshrrev_b32_e32 v7, 16, v5
	v_mul_f16_sdwa v0, v111, v7 dst_sel:DWORD dst_unused:UNUSED_PAD src0_sel:WORD_1 src1_sel:DWORD
	v_fma_f16 v0, v111, v5, v0
	v_cvt_f32_f16_e32 v0, v0
	v_mad_u64_u32 v[3:4], s[0:1], s11, v64, v[3:4]
	v_mul_f16_sdwa v5, v111, v5 dst_sel:DWORD dst_unused:UNUSED_PAD src0_sel:WORD_1 src1_sel:DWORD
	v_cvt_f64_f32_e32 v[0:1], v0
	v_fma_f16 v5, v111, v7, -v5
	v_cvt_f32_f16_e32 v5, v5
	s_movk_i32 s10, 0x40f
	v_mul_f64 v[0:1], v[0:1], s[2:3]
	s_mov_b32 s11, 0x8000
	v_lshlrev_b64 v[2:3], 2, v[2:3]
	v_and_or_b32 v0, v1, s6, v0
	v_cmp_ne_u32_e32 vcc, 0, v0
	v_cndmask_b32_e64 v0, 0, 1, vcc
	v_lshrrev_b32_e32 v4, 8, v1
	v_bfe_u32 v8, v1, 20, 11
	v_and_or_b32 v0, v4, s7, v0
	v_sub_u32_e32 v9, 0x3f1, v8
	v_or_b32_e32 v4, 0x1000, v0
	v_med3_i32 v9, v9, 0, 13
	v_lshrrev_b32_e32 v10, v9, v4
	v_lshlrev_b32_e32 v9, v9, v10
	v_cmp_ne_u32_e32 vcc, v9, v4
	v_cndmask_b32_e64 v4, 0, 1, vcc
	v_add_u32_e32 v8, 0xfffffc10, v8
	v_or_b32_e32 v4, v10, v4
	v_lshl_or_b32 v9, v8, 12, v0
	v_cmp_gt_i32_e32 vcc, 1, v8
	v_cndmask_b32_e32 v4, v9, v4, vcc
	v_and_b32_e32 v9, 7, v4
	v_cmp_lt_i32_e32 vcc, 5, v9
	v_cmp_eq_u32_e64 s[0:1], 3, v9
	v_lshrrev_b32_e32 v4, 2, v4
	s_or_b64 vcc, s[0:1], vcc
	v_addc_co_u32_e32 v7, vcc, 0, v4, vcc
	v_cvt_f64_f32_e32 v[4:5], v5
	v_cmp_gt_i32_e32 vcc, 31, v8
	v_cndmask_b32_e32 v7, v15, v7, vcc
	v_cmp_ne_u32_e32 vcc, 0, v0
	v_mul_f64 v[4:5], v[4:5], s[2:3]
	v_cndmask_b32_e64 v0, 0, 1, vcc
	v_lshl_or_b32 v0, v0, 9, v15
	v_cmp_eq_u32_e32 vcc, s10, v8
	v_cndmask_b32_e32 v0, v7, v0, vcc
	v_lshrrev_b32_e32 v1, 16, v1
	v_and_or_b32 v9, v1, s11, v0
	v_and_b32_e32 v9, 0xffff, v9
	v_and_or_b32 v0, v5, s6, v4
	v_cmp_ne_u32_e32 vcc, 0, v0
	v_cndmask_b32_e64 v0, 0, 1, vcc
	v_lshrrev_b32_e32 v1, 8, v5
	v_bfe_u32 v4, v5, 20, 11
	v_and_or_b32 v0, v1, s7, v0
	v_sub_u32_e32 v7, 0x3f1, v4
	v_or_b32_e32 v1, 0x1000, v0
	v_med3_i32 v7, v7, 0, 13
	v_lshrrev_b32_e32 v8, v7, v1
	v_lshlrev_b32_e32 v7, v7, v8
	v_cmp_ne_u32_e32 vcc, v7, v1
	v_cndmask_b32_e64 v1, 0, 1, vcc
	v_add_u32_e32 v4, 0xfffffc10, v4
	v_or_b32_e32 v1, v8, v1
	v_lshl_or_b32 v7, v4, 12, v0
	v_cmp_gt_i32_e32 vcc, 1, v4
	v_cndmask_b32_e32 v1, v7, v1, vcc
	v_and_b32_e32 v7, 7, v1
	v_cmp_lt_i32_e32 vcc, 5, v7
	v_cmp_eq_u32_e64 s[0:1], 3, v7
	v_lshrrev_b32_e32 v1, 2, v1
	s_or_b64 vcc, s[0:1], vcc
	v_addc_co_u32_e32 v1, vcc, 0, v1, vcc
	v_cmp_gt_i32_e32 vcc, 31, v4
	v_cndmask_b32_e32 v1, v15, v1, vcc
	v_cmp_ne_u32_e32 vcc, 0, v0
	v_cndmask_b32_e64 v0, 0, 1, vcc
	v_lshl_or_b32 v0, v0, 9, v15
	v_cmp_eq_u32_e32 vcc, s10, v4
	v_mad_u64_u32 v[7:8], s[0:1], s8, v109, 0
	v_cndmask_b32_e32 v10, v1, v0, vcc
	ds_read2_b32 v[0:1], v119 offset0:112 offset1:232
	v_mov_b32_e32 v4, v8
	v_lshrrev_b32_e32 v11, 16, v5
	v_mad_u64_u32 v[4:5], s[0:1], s9, v109, v[4:5]
	s_waitcnt lgkmcnt(0)
	v_lshrrev_b32_e32 v12, 16, v1
	v_mul_f16_sdwa v5, v108, v12 dst_sel:DWORD dst_unused:UNUSED_PAD src0_sel:WORD_1 src1_sel:DWORD
	v_fma_f16 v5, v108, v1, v5
	v_cvt_f32_f16_e32 v5, v5
	v_mov_b32_e32 v8, v4
	v_and_or_b32 v10, v11, s11, v10
	v_lshl_or_b32 v9, v10, 16, v9
	v_cvt_f64_f32_e32 v[4:5], v5
	v_mov_b32_e32 v10, s5
	v_add_co_u32_e32 v16, vcc, s4, v2
	v_mul_f64 v[4:5], v[4:5], s[2:3]
	v_addc_co_u32_e32 v17, vcc, v10, v3, vcc
	v_lshlrev_b64 v[2:3], 2, v[7:8]
	v_mul_f16_sdwa v1, v108, v1 dst_sel:DWORD dst_unused:UNUSED_PAD src0_sel:WORD_1 src1_sel:DWORD
	v_add_co_u32_e32 v2, vcc, v16, v2
	v_addc_co_u32_e32 v3, vcc, v17, v3, vcc
	v_and_or_b32 v4, v5, s6, v4
	v_cmp_ne_u32_e32 vcc, 0, v4
	v_cndmask_b32_e64 v4, 0, 1, vcc
	v_lshrrev_b32_e32 v7, 8, v5
	v_bfe_u32 v8, v5, 20, 11
	global_store_dword v[2:3], v9, off
	v_and_or_b32 v4, v7, s7, v4
	v_sub_u32_e32 v9, 0x3f1, v8
	v_or_b32_e32 v7, 0x1000, v4
	v_med3_i32 v9, v9, 0, 13
	v_lshrrev_b32_e32 v10, v9, v7
	v_lshlrev_b32_e32 v9, v9, v10
	v_cmp_ne_u32_e32 vcc, v9, v7
	v_cndmask_b32_e64 v7, 0, 1, vcc
	v_fma_f16 v1, v108, v12, -v1
	v_or_b32_e32 v7, v10, v7
	v_add_u32_e32 v10, 0xfffffc10, v8
	v_cvt_f32_f16_e32 v1, v1
	v_lshl_or_b32 v8, v10, 12, v4
	v_cmp_gt_i32_e32 vcc, 1, v10
	v_cndmask_b32_e32 v7, v8, v7, vcc
	v_and_b32_e32 v8, 7, v7
	v_cmp_lt_i32_e32 vcc, 5, v8
	v_cmp_eq_u32_e64 s[0:1], 3, v8
	v_lshrrev_b32_e32 v9, 2, v7
	v_cvt_f64_f32_e32 v[7:8], v1
	s_or_b64 vcc, s[0:1], vcc
	v_addc_co_u32_e32 v1, vcc, 0, v9, vcc
	v_mul_f64 v[8:9], v[7:8], s[2:3]
	v_cmp_gt_i32_e32 vcc, 31, v10
	v_cndmask_b32_e32 v1, v15, v1, vcc
	v_cmp_ne_u32_e32 vcc, 0, v4
	v_cndmask_b32_e64 v4, 0, 1, vcc
	v_lshl_or_b32 v4, v4, 9, v15
	v_cmp_eq_u32_e32 vcc, s10, v10
	v_cndmask_b32_e32 v1, v1, v4, vcc
	v_lshrrev_b32_e32 v4, 16, v5
	v_and_or_b32 v1, v4, s11, v1
	v_and_or_b32 v4, v9, s6, v8
	v_cmp_ne_u32_e32 vcc, 0, v4
	v_cndmask_b32_e64 v4, 0, 1, vcc
	v_lshrrev_b32_e32 v5, 8, v9
	v_bfe_u32 v7, v9, 20, 11
	v_and_or_b32 v4, v5, s7, v4
	v_sub_u32_e32 v8, 0x3f1, v7
	v_or_b32_e32 v5, 0x1000, v4
	v_med3_i32 v8, v8, 0, 13
	v_lshrrev_b32_e32 v10, v8, v5
	v_lshlrev_b32_e32 v8, v8, v10
	v_cmp_ne_u32_e32 vcc, v8, v5
	v_cndmask_b32_e64 v5, 0, 1, vcc
	v_or_b32_e32 v5, v10, v5
	v_add_u32_e32 v10, 0xfffffc10, v7
	v_lshl_or_b32 v7, v10, 12, v4
	v_cmp_gt_i32_e32 vcc, 1, v10
	v_cndmask_b32_e32 v5, v7, v5, vcc
	v_and_b32_e32 v7, 7, v5
	v_cmp_lt_i32_e32 vcc, 5, v7
	v_cmp_eq_u32_e64 s[0:1], 3, v7
	v_lshrrev_b32_e32 v5, 2, v5
	s_or_b64 vcc, s[0:1], vcc
	ds_read2_b32 v[7:8], v118 offset0:80 offset1:200
	v_addc_co_u32_e32 v5, vcc, 0, v5, vcc
	v_cmp_gt_i32_e32 vcc, 31, v10
	v_cndmask_b32_e32 v5, v15, v5, vcc
	v_cmp_ne_u32_e32 vcc, 0, v4
	v_cndmask_b32_e64 v4, 0, 1, vcc
	v_lshl_or_b32 v4, v4, 9, v15
	v_cmp_eq_u32_e32 vcc, s10, v10
	s_waitcnt lgkmcnt(0)
	v_lshrrev_b32_e32 v11, 16, v7
	v_cndmask_b32_e32 v4, v5, v4, vcc
	v_lshrrev_b32_e32 v5, 16, v9
	v_mul_f16_sdwa v9, v106, v11 dst_sel:DWORD dst_unused:UNUSED_PAD src0_sel:WORD_1 src1_sel:DWORD
	v_fma_f16 v9, v106, v7, v9
	v_cvt_f32_f16_e32 v9, v9
	v_and_or_b32 v4, v5, s11, v4
	v_and_b32_e32 v1, 0xffff, v1
	v_lshl_or_b32 v1, v4, 16, v1
	v_cvt_f64_f32_e32 v[4:5], v9
	s_mul_i32 s0, s9, 0x5a0
	s_mul_hi_u32 s4, s8, 0x5a0
	s_add_i32 s4, s4, s0
	v_mul_f64 v[4:5], v[4:5], s[2:3]
	s_mul_i32 s5, s8, 0x5a0
	v_mov_b32_e32 v10, s4
	v_add_co_u32_e32 v9, vcc, s5, v2
	v_addc_co_u32_e32 v10, vcc, v3, v10, vcc
	global_store_dword v[9:10], v1, off
	v_and_or_b32 v1, v5, s6, v4
	v_cmp_ne_u32_e32 vcc, 0, v1
	v_cndmask_b32_e64 v1, 0, 1, vcc
	v_lshrrev_b32_e32 v2, 8, v5
	v_and_or_b32 v4, v2, s7, v1
	v_bfe_u32 v2, v5, 20, 11
	v_sub_u32_e32 v3, 0x3f1, v2
	v_or_b32_e32 v1, 0x1000, v4
	v_med3_i32 v3, v3, 0, 13
	v_lshrrev_b32_e32 v12, v3, v1
	v_lshlrev_b32_e32 v3, v3, v12
	v_cmp_ne_u32_e32 vcc, v3, v1
	v_mul_f16_sdwa v3, v106, v7 dst_sel:DWORD dst_unused:UNUSED_PAD src0_sel:WORD_1 src1_sel:DWORD
	v_cndmask_b32_e64 v1, 0, 1, vcc
	v_fma_f16 v3, v106, v11, -v3
	v_or_b32_e32 v1, v12, v1
	v_add_u32_e32 v12, 0xfffffc10, v2
	v_cvt_f32_f16_e32 v3, v3
	v_lshl_or_b32 v2, v12, 12, v4
	v_cmp_gt_i32_e32 vcc, 1, v12
	v_cndmask_b32_e32 v1, v2, v1, vcc
	v_and_b32_e32 v2, 7, v1
	v_cmp_lt_i32_e32 vcc, 5, v2
	v_cmp_eq_u32_e64 s[0:1], 3, v2
	v_lshrrev_b32_e32 v7, 2, v1
	v_cvt_f64_f32_e32 v[1:2], v3
	s_or_b64 vcc, s[0:1], vcc
	v_addc_co_u32_e32 v3, vcc, 0, v7, vcc
	v_cmp_gt_i32_e32 vcc, 31, v12
	v_cndmask_b32_e32 v7, v15, v3, vcc
	v_mul_f64 v[2:3], v[1:2], s[2:3]
	v_cmp_ne_u32_e32 vcc, 0, v4
	v_cndmask_b32_e64 v1, 0, 1, vcc
	v_lshl_or_b32 v1, v1, 9, v15
	v_cmp_eq_u32_e32 vcc, s10, v12
	v_cndmask_b32_e32 v1, v7, v1, vcc
	v_lshrrev_b32_e32 v4, 16, v5
	v_and_or_b32 v7, v4, s11, v1
	v_and_or_b32 v1, v3, s6, v2
	v_cmp_ne_u32_e32 vcc, 0, v1
	v_cndmask_b32_e64 v1, 0, 1, vcc
	v_lshrrev_b32_e32 v2, 8, v3
	v_and_or_b32 v4, v2, s7, v1
	v_bfe_u32 v2, v3, 20, 11
	v_sub_u32_e32 v5, 0x3f1, v2
	v_or_b32_e32 v1, 0x1000, v4
	v_med3_i32 v5, v5, 0, 13
	v_lshrrev_b32_e32 v11, v5, v1
	v_lshlrev_b32_e32 v5, v5, v11
	v_cmp_ne_u32_e32 vcc, v5, v1
	v_cndmask_b32_e64 v1, 0, 1, vcc
	v_add_u32_e32 v5, 0xfffffc10, v2
	v_or_b32_e32 v1, v11, v1
	v_lshl_or_b32 v2, v5, 12, v4
	v_cmp_gt_i32_e32 vcc, 1, v5
	v_cndmask_b32_e32 v1, v2, v1, vcc
	v_and_b32_e32 v2, 7, v1
	v_cmp_lt_i32_e32 vcc, 5, v2
	v_cmp_eq_u32_e64 s[0:1], 3, v2
	v_lshrrev_b32_e32 v1, 2, v1
	s_or_b64 vcc, s[0:1], vcc
	v_addc_co_u32_e32 v11, vcc, 0, v1, vcc
	ds_read2_b32 v[1:2], v117 offset0:64 offset1:184
	v_cmp_gt_i32_e32 vcc, 31, v5
	v_cndmask_b32_e32 v11, v15, v11, vcc
	v_cmp_ne_u32_e32 vcc, 0, v4
	v_cndmask_b32_e64 v4, 0, 1, vcc
	s_waitcnt lgkmcnt(0)
	v_lshrrev_b32_e32 v13, 16, v2
	v_mul_f16_sdwa v12, v104, v13 dst_sel:DWORD dst_unused:UNUSED_PAD src0_sel:WORD_1 src1_sel:DWORD
	v_fma_f16 v12, v104, v2, v12
	v_cvt_f32_f16_e32 v12, v12
	v_lshl_or_b32 v4, v4, 9, v15
	v_cmp_eq_u32_e32 vcc, s10, v5
	v_cndmask_b32_e32 v11, v11, v4, vcc
	v_cvt_f64_f32_e32 v[4:5], v12
	v_lshrrev_b32_e32 v3, 16, v3
	v_and_or_b32 v11, v3, s11, v11
	v_and_b32_e32 v7, 0xffff, v7
	v_mul_f64 v[3:4], v[4:5], s[2:3]
	v_lshl_or_b32 v5, v11, 16, v7
	v_mov_b32_e32 v7, s4
	v_add_co_u32_e32 v11, vcc, s5, v9
	v_addc_co_u32_e32 v12, vcc, v10, v7, vcc
	global_store_dword v[11:12], v5, off
	v_and_or_b32 v3, v4, s6, v3
	v_cmp_ne_u32_e32 vcc, 0, v3
	v_cndmask_b32_e64 v3, 0, 1, vcc
	v_lshrrev_b32_e32 v5, 8, v4
	v_bfe_u32 v7, v4, 20, 11
	v_and_or_b32 v5, v5, s7, v3
	v_sub_u32_e32 v9, 0x3f1, v7
	v_or_b32_e32 v3, 0x1000, v5
	v_med3_i32 v9, v9, 0, 13
	v_lshrrev_b32_e32 v10, v9, v3
	v_lshlrev_b32_e32 v9, v9, v10
	v_mul_f16_sdwa v2, v104, v2 dst_sel:DWORD dst_unused:UNUSED_PAD src0_sel:WORD_1 src1_sel:DWORD
	v_cmp_ne_u32_e32 vcc, v9, v3
	v_fma_f16 v2, v104, v13, -v2
	v_cndmask_b32_e64 v3, 0, 1, vcc
	v_add_u32_e32 v7, 0xfffffc10, v7
	v_cvt_f32_f16_e32 v2, v2
	v_or_b32_e32 v3, v10, v3
	v_lshl_or_b32 v9, v7, 12, v5
	v_cmp_gt_i32_e32 vcc, 1, v7
	v_cndmask_b32_e32 v3, v9, v3, vcc
	v_and_b32_e32 v9, 7, v3
	v_cmp_lt_i32_e32 vcc, 5, v9
	v_cmp_eq_u32_e64 s[0:1], 3, v9
	v_lshrrev_b32_e32 v9, 2, v3
	v_cvt_f64_f32_e32 v[2:3], v2
	s_or_b64 vcc, s[0:1], vcc
	v_addc_co_u32_e32 v9, vcc, 0, v9, vcc
	v_mul_f64 v[2:3], v[2:3], s[2:3]
	v_cmp_gt_i32_e32 vcc, 31, v7
	v_cndmask_b32_e32 v9, v15, v9, vcc
	v_cmp_ne_u32_e32 vcc, 0, v5
	v_cndmask_b32_e64 v5, 0, 1, vcc
	v_lshl_or_b32 v5, v5, 9, v15
	v_cmp_eq_u32_e32 vcc, s10, v7
	v_cndmask_b32_e32 v5, v9, v5, vcc
	v_and_or_b32 v2, v3, s6, v2
	v_lshrrev_b32_e32 v4, 16, v4
	v_cmp_ne_u32_e32 vcc, 0, v2
	v_and_or_b32 v7, v4, s11, v5
	v_cndmask_b32_e64 v2, 0, 1, vcc
	v_lshrrev_b32_e32 v4, 8, v3
	v_bfe_u32 v5, v3, 20, 11
	v_and_or_b32 v2, v4, s7, v2
	v_sub_u32_e32 v9, 0x3f1, v5
	v_or_b32_e32 v4, 0x1000, v2
	v_med3_i32 v9, v9, 0, 13
	v_lshrrev_b32_e32 v10, v9, v4
	v_lshlrev_b32_e32 v9, v9, v10
	v_cmp_ne_u32_e32 vcc, v9, v4
	v_cndmask_b32_e64 v4, 0, 1, vcc
	v_add_u32_e32 v5, 0xfffffc10, v5
	v_or_b32_e32 v4, v10, v4
	v_lshl_or_b32 v9, v5, 12, v2
	v_cmp_gt_i32_e32 vcc, 1, v5
	v_cndmask_b32_e32 v4, v9, v4, vcc
	v_and_b32_e32 v9, 7, v4
	v_cmp_lt_i32_e32 vcc, 5, v9
	v_cmp_eq_u32_e64 s[0:1], 3, v9
	ds_read2_b32 v[9:10], v116 offset0:32 offset1:152
	v_lshrrev_b32_e32 v4, 2, v4
	s_or_b64 vcc, s[0:1], vcc
	v_addc_co_u32_e32 v4, vcc, 0, v4, vcc
	s_waitcnt lgkmcnt(0)
	v_lshrrev_b32_e32 v13, 16, v9
	v_mul_f16_sdwa v14, v102, v13 dst_sel:DWORD dst_unused:UNUSED_PAD src0_sel:WORD_1 src1_sel:DWORD
	v_fma_f16 v14, v102, v9, v14
	v_cmp_gt_i32_e32 vcc, 31, v5
	v_cvt_f32_f16_e32 v14, v14
	v_cndmask_b32_e32 v4, v15, v4, vcc
	v_cmp_ne_u32_e32 vcc, 0, v2
	v_cndmask_b32_e64 v2, 0, 1, vcc
	v_lshl_or_b32 v2, v2, 9, v15
	v_cmp_eq_u32_e32 vcc, s10, v5
	v_cndmask_b32_e32 v2, v4, v2, vcc
	v_cvt_f64_f32_e32 v[4:5], v14
	v_lshrrev_b32_e32 v3, 16, v3
	v_and_or_b32 v14, v3, s11, v2
	v_and_b32_e32 v7, 0xffff, v7
	v_mul_f64 v[2:3], v[4:5], s[2:3]
	v_mov_b32_e32 v5, s4
	v_add_co_u32_e32 v4, vcc, s5, v11
	v_addc_co_u32_e32 v5, vcc, v12, v5, vcc
	v_lshl_or_b32 v7, v14, 16, v7
	global_store_dword v[4:5], v7, off
	v_and_or_b32 v2, v3, s6, v2
	v_cmp_ne_u32_e32 vcc, 0, v2
	v_cndmask_b32_e64 v2, 0, 1, vcc
	v_lshrrev_b32_e32 v7, 8, v3
	v_bfe_u32 v11, v3, 20, 11
	v_and_or_b32 v2, v7, s7, v2
	v_sub_u32_e32 v12, 0x3f1, v11
	v_or_b32_e32 v7, 0x1000, v2
	v_med3_i32 v12, v12, 0, 13
	v_lshrrev_b32_e32 v14, v12, v7
	v_lshlrev_b32_e32 v12, v12, v14
	v_cmp_ne_u32_e32 vcc, v12, v7
	v_mul_f16_sdwa v9, v102, v9 dst_sel:DWORD dst_unused:UNUSED_PAD src0_sel:WORD_1 src1_sel:DWORD
	v_cndmask_b32_e64 v7, 0, 1, vcc
	v_fma_f16 v9, v102, v13, -v9
	v_or_b32_e32 v7, v14, v7
	v_add_u32_e32 v14, 0xfffffc10, v11
	v_cvt_f32_f16_e32 v9, v9
	v_lshl_or_b32 v11, v14, 12, v2
	v_cmp_gt_i32_e32 vcc, 1, v14
	v_cndmask_b32_e32 v7, v11, v7, vcc
	v_and_b32_e32 v11, 7, v7
	v_cmp_lt_i32_e32 vcc, 5, v11
	v_cmp_eq_u32_e64 s[0:1], 3, v11
	v_cvt_f64_f32_e32 v[11:12], v9
	v_lshrrev_b32_e32 v7, 2, v7
	s_or_b64 vcc, s[0:1], vcc
	v_addc_co_u32_e32 v7, vcc, 0, v7, vcc
	v_mul_f64 v[11:12], v[11:12], s[2:3]
	v_cmp_gt_i32_e32 vcc, 31, v14
	v_cndmask_b32_e32 v7, v15, v7, vcc
	v_cmp_ne_u32_e32 vcc, 0, v2
	v_cndmask_b32_e64 v2, 0, 1, vcc
	v_lshl_or_b32 v2, v2, 9, v15
	v_cmp_eq_u32_e32 vcc, s10, v14
	v_cndmask_b32_e32 v2, v7, v2, vcc
	v_lshrrev_b32_e32 v3, 16, v3
	v_and_or_b32 v7, v3, s11, v2
	v_and_or_b32 v2, v12, s6, v11
	v_cmp_ne_u32_e32 vcc, 0, v2
	v_cndmask_b32_e64 v2, 0, 1, vcc
	v_lshrrev_b32_e32 v3, 8, v12
	v_and_or_b32 v9, v3, s7, v2
	v_bfe_u32 v3, v12, 20, 11
	v_sub_u32_e32 v11, 0x3f1, v3
	v_or_b32_e32 v2, 0x1000, v9
	v_med3_i32 v11, v11, 0, 13
	v_lshrrev_b32_e32 v13, v11, v2
	v_lshlrev_b32_e32 v11, v11, v13
	v_cmp_ne_u32_e32 vcc, v11, v2
	v_cndmask_b32_e64 v2, 0, 1, vcc
	v_add_u32_e32 v11, 0xfffffc10, v3
	v_or_b32_e32 v2, v13, v2
	v_lshl_or_b32 v3, v11, 12, v9
	v_cmp_gt_i32_e32 vcc, 1, v11
	v_cndmask_b32_e32 v2, v3, v2, vcc
	v_and_b32_e32 v3, 7, v2
	v_cmp_lt_i32_e32 vcc, 5, v3
	v_cmp_eq_u32_e64 s[0:1], 3, v3
	v_lshrrev_b32_e32 v2, 2, v2
	s_or_b64 vcc, s[0:1], vcc
	v_addc_co_u32_e32 v13, vcc, 0, v2, vcc
	ds_read2_b32 v[2:3], v115 offset0:16 offset1:136
	v_cmp_gt_i32_e32 vcc, 31, v11
	v_cndmask_b32_e32 v13, v15, v13, vcc
	v_cmp_ne_u32_e32 vcc, 0, v9
	v_cndmask_b32_e64 v9, 0, 1, vcc
	s_waitcnt lgkmcnt(0)
	v_lshrrev_b32_e32 v18, 16, v3
	v_mul_f16_sdwa v14, v100, v18 dst_sel:DWORD dst_unused:UNUSED_PAD src0_sel:WORD_1 src1_sel:DWORD
	v_fma_f16 v14, v100, v3, v14
	v_cvt_f32_f16_e32 v14, v14
	v_lshl_or_b32 v9, v9, 9, v15
	v_cmp_eq_u32_e32 vcc, s10, v11
	v_cndmask_b32_e32 v9, v13, v9, vcc
	v_cvt_f64_f32_e32 v[13:14], v14
	v_lshrrev_b32_e32 v11, 16, v12
	v_and_or_b32 v9, v11, s11, v9
	v_and_b32_e32 v7, 0xffff, v7
	v_mul_f64 v[11:12], v[13:14], s[2:3]
	v_lshl_or_b32 v7, v9, 16, v7
	v_mov_b32_e32 v9, s4
	v_add_co_u32_e32 v4, vcc, s5, v4
	v_addc_co_u32_e32 v5, vcc, v5, v9, vcc
	global_store_dword v[4:5], v7, off
	v_and_or_b32 v7, v12, s6, v11
	v_cmp_ne_u32_e32 vcc, 0, v7
	v_cndmask_b32_e64 v7, 0, 1, vcc
	v_lshrrev_b32_e32 v9, 8, v12
	v_bfe_u32 v11, v12, 20, 11
	v_and_or_b32 v7, v9, s7, v7
	v_sub_u32_e32 v13, 0x3f1, v11
	v_or_b32_e32 v9, 0x1000, v7
	v_med3_i32 v13, v13, 0, 13
	v_lshrrev_b32_e32 v14, v13, v9
	v_lshlrev_b32_e32 v13, v13, v14
	v_mul_f16_sdwa v3, v100, v3 dst_sel:DWORD dst_unused:UNUSED_PAD src0_sel:WORD_1 src1_sel:DWORD
	v_cmp_ne_u32_e32 vcc, v13, v9
	v_fma_f16 v3, v100, v18, -v3
	v_cndmask_b32_e64 v9, 0, 1, vcc
	v_add_u32_e32 v11, 0xfffffc10, v11
	v_cvt_f32_f16_e32 v3, v3
	v_or_b32_e32 v9, v14, v9
	v_lshl_or_b32 v13, v11, 12, v7
	v_cmp_gt_i32_e32 vcc, 1, v11
	v_cndmask_b32_e32 v9, v13, v9, vcc
	v_and_b32_e32 v13, 7, v9
	v_cmp_lt_i32_e32 vcc, 5, v13
	v_cmp_eq_u32_e64 s[0:1], 3, v13
	v_cvt_f64_f32_e32 v[13:14], v3
	v_lshrrev_b32_e32 v9, 2, v9
	s_or_b64 vcc, s[0:1], vcc
	v_addc_co_u32_e32 v3, vcc, 0, v9, vcc
	v_mul_f64 v[13:14], v[13:14], s[2:3]
	v_cmp_gt_i32_e32 vcc, 31, v11
	v_cndmask_b32_e32 v3, v15, v3, vcc
	v_cmp_ne_u32_e32 vcc, 0, v7
	v_cndmask_b32_e64 v7, 0, 1, vcc
	v_lshl_or_b32 v7, v7, 9, v15
	v_cmp_eq_u32_e32 vcc, s10, v11
	v_cndmask_b32_e32 v3, v3, v7, vcc
	v_lshrrev_b32_e32 v7, 16, v12
	v_and_or_b32 v3, v7, s11, v3
	v_and_or_b32 v7, v14, s6, v13
	v_cmp_ne_u32_e32 vcc, 0, v7
	v_cndmask_b32_e64 v7, 0, 1, vcc
	v_lshrrev_b32_e32 v9, 8, v14
	v_bfe_u32 v11, v14, 20, 11
	v_and_or_b32 v7, v9, s7, v7
	v_sub_u32_e32 v12, 0x3f1, v11
	v_or_b32_e32 v9, 0x1000, v7
	v_med3_i32 v12, v12, 0, 13
	v_lshrrev_b32_e32 v13, v12, v9
	v_lshlrev_b32_e32 v12, v12, v13
	v_cmp_ne_u32_e32 vcc, v12, v9
	v_cndmask_b32_e64 v9, 0, 1, vcc
	v_or_b32_e32 v9, v13, v9
	v_add_u32_e32 v13, 0xfffffc10, v11
	v_lshl_or_b32 v11, v13, 12, v7
	v_cmp_gt_i32_e32 vcc, 1, v13
	v_cndmask_b32_e32 v9, v11, v9, vcc
	v_and_b32_e32 v11, 7, v9
	v_cmp_lt_i32_e32 vcc, 5, v11
	v_cmp_eq_u32_e64 s[0:1], 3, v11
	ds_read2_b32 v[11:12], v114 offset0:112 offset1:232
	v_lshrrev_b32_e32 v9, 2, v9
	s_or_b64 vcc, s[0:1], vcc
	v_addc_co_u32_e32 v9, vcc, 0, v9, vcc
	s_waitcnt lgkmcnt(0)
	v_lshrrev_b32_e32 v20, 16, v11
	v_mul_f16_sdwa v18, v105, v20 dst_sel:DWORD dst_unused:UNUSED_PAD src0_sel:WORD_1 src1_sel:DWORD
	v_fma_f16 v18, v105, v11, v18
	v_cvt_f32_f16_e32 v18, v18
	v_cmp_gt_i32_e32 vcc, 31, v13
	v_cndmask_b32_e32 v9, v15, v9, vcc
	v_cmp_ne_u32_e32 vcc, 0, v7
	v_cvt_f64_f32_e32 v[18:19], v18
	v_cndmask_b32_e64 v7, 0, 1, vcc
	v_lshl_or_b32 v7, v7, 9, v15
	v_cmp_eq_u32_e32 vcc, s10, v13
	v_cndmask_b32_e32 v7, v9, v7, vcc
	v_lshrrev_b32_e32 v9, 16, v14
	v_mul_f64 v[13:14], v[18:19], s[2:3]
	v_and_or_b32 v7, v9, s11, v7
	v_and_b32_e32 v3, 0xffff, v3
	v_lshl_or_b32 v3, v7, 16, v3
	v_mov_b32_e32 v7, s4
	v_add_co_u32_e32 v18, vcc, s5, v4
	v_addc_co_u32_e32 v19, vcc, v5, v7, vcc
	global_store_dword v[18:19], v3, off
	v_and_or_b32 v3, v14, s6, v13
	v_cmp_ne_u32_e32 vcc, 0, v3
	v_cndmask_b32_e64 v3, 0, 1, vcc
	v_lshrrev_b32_e32 v4, 8, v14
	v_and_or_b32 v7, v4, s7, v3
	v_bfe_u32 v4, v14, 20, 11
	v_sub_u32_e32 v5, 0x3f1, v4
	v_or_b32_e32 v3, 0x1000, v7
	v_med3_i32 v5, v5, 0, 13
	v_lshrrev_b32_e32 v9, v5, v3
	v_lshlrev_b32_e32 v5, v5, v9
	v_cmp_ne_u32_e32 vcc, v5, v3
	v_mul_f16_sdwa v5, v105, v11 dst_sel:DWORD dst_unused:UNUSED_PAD src0_sel:WORD_1 src1_sel:DWORD
	v_cndmask_b32_e64 v3, 0, 1, vcc
	v_fma_f16 v5, v105, v20, -v5
	v_or_b32_e32 v3, v9, v3
	v_add_u32_e32 v9, 0xfffffc10, v4
	v_cvt_f32_f16_e32 v5, v5
	v_lshl_or_b32 v4, v9, 12, v7
	v_cmp_gt_i32_e32 vcc, 1, v9
	v_cndmask_b32_e32 v3, v4, v3, vcc
	v_and_b32_e32 v4, 7, v3
	v_cmp_lt_i32_e32 vcc, 5, v4
	v_cmp_eq_u32_e64 s[0:1], 3, v4
	v_lshrrev_b32_e32 v11, 2, v3
	v_cvt_f64_f32_e32 v[3:4], v5
	s_or_b64 vcc, s[0:1], vcc
	v_addc_co_u32_e32 v5, vcc, 0, v11, vcc
	v_cmp_gt_i32_e32 vcc, 31, v9
	v_cndmask_b32_e32 v11, v15, v5, vcc
	v_mul_f64 v[4:5], v[3:4], s[2:3]
	v_cmp_ne_u32_e32 vcc, 0, v7
	v_cndmask_b32_e64 v3, 0, 1, vcc
	v_lshl_or_b32 v3, v3, 9, v15
	v_cmp_eq_u32_e32 vcc, s10, v9
	v_cndmask_b32_e32 v3, v11, v3, vcc
	v_lshrrev_b32_e32 v7, 16, v14
	v_and_or_b32 v7, v7, s11, v3
	v_and_or_b32 v3, v5, s6, v4
	v_cmp_ne_u32_e32 vcc, 0, v3
	v_cndmask_b32_e64 v3, 0, 1, vcc
	v_lshrrev_b32_e32 v4, 8, v5
	v_and_or_b32 v9, v4, s7, v3
	v_bfe_u32 v4, v5, 20, 11
	v_sub_u32_e32 v11, 0x3f1, v4
	v_or_b32_e32 v3, 0x1000, v9
	v_med3_i32 v11, v11, 0, 13
	v_lshrrev_b32_e32 v13, v11, v3
	v_lshlrev_b32_e32 v11, v11, v13
	v_cmp_ne_u32_e32 vcc, v11, v3
	v_cndmask_b32_e64 v3, 0, 1, vcc
	v_add_u32_e32 v11, 0xfffffc10, v4
	v_or_b32_e32 v3, v13, v3
	v_lshl_or_b32 v4, v11, 12, v9
	v_cmp_gt_i32_e32 vcc, 1, v11
	v_cndmask_b32_e32 v3, v4, v3, vcc
	v_and_b32_e32 v4, 7, v3
	v_cmp_lt_i32_e32 vcc, 5, v4
	v_cmp_eq_u32_e64 s[0:1], 3, v4
	v_lshrrev_b32_e32 v3, 2, v3
	s_or_b64 vcc, s[0:1], vcc
	v_addc_co_u32_e32 v13, vcc, 0, v3, vcc
	ds_read2_b32 v[3:4], v112 offset0:96 offset1:216
	v_cmp_gt_i32_e32 vcc, 31, v11
	v_cndmask_b32_e32 v13, v15, v13, vcc
	v_cmp_ne_u32_e32 vcc, 0, v9
	v_cndmask_b32_e64 v9, 0, 1, vcc
	s_waitcnt lgkmcnt(0)
	v_lshrrev_b32_e32 v20, 16, v4
	v_mul_f16_sdwa v14, v103, v20 dst_sel:DWORD dst_unused:UNUSED_PAD src0_sel:WORD_1 src1_sel:DWORD
	v_fma_f16 v14, v103, v4, v14
	v_cvt_f32_f16_e32 v14, v14
	v_lshl_or_b32 v9, v9, 9, v15
	v_cmp_eq_u32_e32 vcc, s10, v11
	v_cndmask_b32_e32 v9, v13, v9, vcc
	v_cvt_f64_f32_e32 v[13:14], v14
	v_lshrrev_b32_e32 v5, 16, v5
	v_and_or_b32 v5, v5, s11, v9
	v_and_b32_e32 v7, 0xffff, v7
	v_mul_f64 v[13:14], v[13:14], s[2:3]
	v_lshl_or_b32 v5, v5, 16, v7
	v_mov_b32_e32 v7, s4
	v_add_co_u32_e32 v18, vcc, s5, v18
	v_addc_co_u32_e32 v19, vcc, v19, v7, vcc
	global_store_dword v[18:19], v5, off
	v_and_or_b32 v5, v14, s6, v13
	v_cmp_ne_u32_e32 vcc, 0, v5
	v_cndmask_b32_e64 v5, 0, 1, vcc
	v_lshrrev_b32_e32 v7, 8, v14
	v_bfe_u32 v9, v14, 20, 11
	v_and_or_b32 v7, v7, s7, v5
	v_sub_u32_e32 v11, 0x3f1, v9
	v_or_b32_e32 v5, 0x1000, v7
	v_med3_i32 v11, v11, 0, 13
	v_lshrrev_b32_e32 v13, v11, v5
	v_lshlrev_b32_e32 v11, v11, v13
	v_mul_f16_sdwa v4, v103, v4 dst_sel:DWORD dst_unused:UNUSED_PAD src0_sel:WORD_1 src1_sel:DWORD
	v_cmp_ne_u32_e32 vcc, v11, v5
	v_fma_f16 v4, v103, v20, -v4
	v_cndmask_b32_e64 v5, 0, 1, vcc
	v_add_u32_e32 v9, 0xfffffc10, v9
	v_cvt_f32_f16_e32 v4, v4
	v_or_b32_e32 v5, v13, v5
	v_lshl_or_b32 v11, v9, 12, v7
	v_cmp_gt_i32_e32 vcc, 1, v9
	v_cndmask_b32_e32 v5, v11, v5, vcc
	v_and_b32_e32 v11, 7, v5
	v_cmp_lt_i32_e32 vcc, 5, v11
	v_cmp_eq_u32_e64 s[0:1], 3, v11
	v_lshrrev_b32_e32 v11, 2, v5
	v_cvt_f64_f32_e32 v[4:5], v4
	s_or_b64 vcc, s[0:1], vcc
	v_addc_co_u32_e32 v11, vcc, 0, v11, vcc
	v_mul_f64 v[4:5], v[4:5], s[2:3]
	v_cmp_gt_i32_e32 vcc, 31, v9
	v_cndmask_b32_e32 v11, v15, v11, vcc
	v_cmp_ne_u32_e32 vcc, 0, v7
	v_cndmask_b32_e64 v7, 0, 1, vcc
	v_lshl_or_b32 v7, v7, 9, v15
	v_cmp_eq_u32_e32 vcc, s10, v9
	v_cndmask_b32_e32 v7, v11, v7, vcc
	v_and_or_b32 v4, v5, s6, v4
	v_lshrrev_b32_e32 v9, 16, v14
	v_cmp_ne_u32_e32 vcc, 0, v4
	v_and_or_b32 v7, v9, s11, v7
	v_cndmask_b32_e64 v4, 0, 1, vcc
	v_lshrrev_b32_e32 v9, 8, v5
	v_bfe_u32 v11, v5, 20, 11
	v_and_or_b32 v4, v9, s7, v4
	v_sub_u32_e32 v13, 0x3f1, v11
	v_or_b32_e32 v9, 0x1000, v4
	v_med3_i32 v13, v13, 0, 13
	v_lshrrev_b32_e32 v14, v13, v9
	v_lshlrev_b32_e32 v13, v13, v14
	v_cmp_ne_u32_e32 vcc, v13, v9
	v_cndmask_b32_e64 v9, 0, 1, vcc
	v_add_u32_e32 v11, 0xfffffc10, v11
	v_or_b32_e32 v9, v14, v9
	v_lshl_or_b32 v13, v11, 12, v4
	v_cmp_gt_i32_e32 vcc, 1, v11
	v_cndmask_b32_e32 v9, v13, v9, vcc
	v_and_b32_e32 v13, 7, v9
	v_cmp_lt_i32_e32 vcc, 5, v13
	v_cmp_eq_u32_e64 s[0:1], 3, v13
	ds_read2_b32 v[13:14], v110 offset0:64 offset1:184
	v_lshrrev_b32_e32 v9, 2, v9
	s_or_b64 vcc, s[0:1], vcc
	v_addc_co_u32_e32 v9, vcc, 0, v9, vcc
	s_waitcnt lgkmcnt(0)
	v_lshrrev_b32_e32 v22, 16, v13
	v_mul_f16_sdwa v20, v101, v22 dst_sel:DWORD dst_unused:UNUSED_PAD src0_sel:WORD_1 src1_sel:DWORD
	v_fma_f16 v20, v101, v13, v20
	v_cvt_f32_f16_e32 v20, v20
	v_cmp_gt_i32_e32 vcc, 31, v11
	v_cndmask_b32_e32 v9, v15, v9, vcc
	v_cmp_ne_u32_e32 vcc, 0, v4
	v_cvt_f64_f32_e32 v[20:21], v20
	v_cndmask_b32_e64 v4, 0, 1, vcc
	v_lshl_or_b32 v4, v4, 9, v15
	v_cmp_eq_u32_e32 vcc, s10, v11
	v_cndmask_b32_e32 v4, v9, v4, vcc
	v_lshrrev_b32_e32 v5, 16, v5
	v_and_or_b32 v9, v5, s11, v4
	v_mul_f64 v[4:5], v[20:21], s[2:3]
	v_and_b32_e32 v7, 0xffff, v7
	v_lshl_or_b32 v7, v9, 16, v7
	v_mov_b32_e32 v9, s4
	v_add_co_u32_e32 v18, vcc, s5, v18
	v_addc_co_u32_e32 v19, vcc, v19, v9, vcc
	v_and_or_b32 v4, v5, s6, v4
	v_cmp_ne_u32_e32 vcc, 0, v4
	global_store_dword v[18:19], v7, off
	v_cndmask_b32_e64 v4, 0, 1, vcc
	v_lshrrev_b32_e32 v7, 8, v5
	v_bfe_u32 v9, v5, 20, 11
	v_and_or_b32 v4, v7, s7, v4
	v_sub_u32_e32 v11, 0x3f1, v9
	v_mul_f16_sdwa v13, v101, v13 dst_sel:DWORD dst_unused:UNUSED_PAD src0_sel:WORD_1 src1_sel:DWORD
	v_or_b32_e32 v7, 0x1000, v4
	v_med3_i32 v11, v11, 0, 13
	v_fma_f16 v13, v101, v22, -v13
	v_lshrrev_b32_e32 v20, v11, v7
	v_cvt_f32_f16_e32 v13, v13
	v_lshlrev_b32_e32 v11, v11, v20
	v_cmp_ne_u32_e32 vcc, v11, v7
	v_cndmask_b32_e64 v7, 0, 1, vcc
	v_or_b32_e32 v7, v20, v7
	v_add_u32_e32 v9, 0xfffffc10, v9
	v_cvt_f64_f32_e32 v[20:21], v13
	v_lshl_or_b32 v11, v9, 12, v4
	v_cmp_gt_i32_e32 vcc, 1, v9
	v_cndmask_b32_e32 v7, v11, v7, vcc
	v_and_b32_e32 v11, 7, v7
	v_cmp_lt_i32_e32 vcc, 5, v11
	v_cmp_eq_u32_e64 s[0:1], 3, v11
	v_mul_f64 v[20:21], v[20:21], s[2:3]
	v_lshrrev_b32_e32 v7, 2, v7
	s_or_b64 vcc, s[0:1], vcc
	v_addc_co_u32_e32 v7, vcc, 0, v7, vcc
	v_cmp_gt_i32_e32 vcc, 31, v9
	v_cndmask_b32_e32 v7, v15, v7, vcc
	v_cmp_ne_u32_e32 vcc, 0, v4
	v_cndmask_b32_e64 v4, 0, 1, vcc
	v_lshl_or_b32 v4, v4, 9, v15
	v_cmp_eq_u32_e32 vcc, s10, v9
	v_cndmask_b32_e32 v4, v7, v4, vcc
	v_lshrrev_b32_e32 v5, 16, v5
	v_and_or_b32 v7, v5, s11, v4
	v_and_or_b32 v4, v21, s6, v20
	v_cmp_ne_u32_e32 vcc, 0, v4
	v_cndmask_b32_e64 v4, 0, 1, vcc
	v_lshrrev_b32_e32 v5, 8, v21
	v_and_or_b32 v9, v5, s7, v4
	v_bfe_u32 v5, v21, 20, 11
	v_sub_u32_e32 v11, 0x3f1, v5
	v_or_b32_e32 v4, 0x1000, v9
	v_med3_i32 v11, v11, 0, 13
	v_lshrrev_b32_e32 v13, v11, v4
	v_lshlrev_b32_e32 v11, v11, v13
	v_cmp_ne_u32_e32 vcc, v11, v4
	v_cndmask_b32_e64 v4, 0, 1, vcc
	v_add_u32_e32 v11, 0xfffffc10, v5
	v_or_b32_e32 v4, v13, v4
	v_lshl_or_b32 v5, v11, 12, v9
	v_cmp_gt_i32_e32 vcc, 1, v11
	v_cndmask_b32_e32 v4, v5, v4, vcc
	v_and_b32_e32 v5, 7, v4
	v_cmp_lt_i32_e32 vcc, 5, v5
	v_cmp_eq_u32_e64 s[0:1], 3, v5
	v_lshrrev_b32_e32 v4, 2, v4
	s_or_b64 vcc, s[0:1], vcc
	v_addc_co_u32_e32 v13, vcc, 0, v4, vcc
	ds_read2_b32 v[4:5], v107 offset0:48 offset1:168
	v_cmp_gt_i32_e32 vcc, 31, v11
	v_cndmask_b32_e32 v13, v15, v13, vcc
	v_cmp_ne_u32_e32 vcc, 0, v9
	v_cndmask_b32_e64 v9, 0, 1, vcc
	s_waitcnt lgkmcnt(0)
	v_lshrrev_b32_e32 v24, 16, v5
	v_mul_f16_sdwa v20, v98, v24 dst_sel:DWORD dst_unused:UNUSED_PAD src0_sel:WORD_1 src1_sel:DWORD
	v_fma_f16 v20, v98, v5, v20
	v_cvt_f32_f16_e32 v20, v20
	v_cmp_eq_u32_e32 vcc, s10, v11
	v_lshrrev_b32_e32 v11, 16, v21
	v_lshl_or_b32 v9, v9, 9, v15
	v_cvt_f64_f32_e32 v[22:23], v20
	v_cndmask_b32_e32 v9, v13, v9, vcc
	v_and_or_b32 v9, v11, s11, v9
	v_and_b32_e32 v7, 0xffff, v7
	v_mul_f64 v[20:21], v[22:23], s[2:3]
	v_lshl_or_b32 v7, v9, 16, v7
	v_mov_b32_e32 v9, s4
	v_add_co_u32_e32 v18, vcc, s5, v18
	v_addc_co_u32_e32 v19, vcc, v19, v9, vcc
	global_store_dword v[18:19], v7, off
	v_and_or_b32 v7, v21, s6, v20
	v_cmp_ne_u32_e32 vcc, 0, v7
	v_cndmask_b32_e64 v7, 0, 1, vcc
	v_lshrrev_b32_e32 v9, 8, v21
	v_bfe_u32 v11, v21, 20, 11
	v_mul_f16_sdwa v5, v98, v5 dst_sel:DWORD dst_unused:UNUSED_PAD src0_sel:WORD_1 src1_sel:DWORD
	v_and_or_b32 v7, v9, s7, v7
	v_sub_u32_e32 v13, 0x3f1, v11
	v_fma_f16 v5, v98, v24, -v5
	v_or_b32_e32 v9, 0x1000, v7
	v_med3_i32 v13, v13, 0, 13
	v_cvt_f32_f16_e32 v5, v5
	v_lshrrev_b32_e32 v20, v13, v9
	v_lshlrev_b32_e32 v13, v13, v20
	v_cmp_ne_u32_e32 vcc, v13, v9
	v_cndmask_b32_e64 v9, 0, 1, vcc
	v_add_u32_e32 v11, 0xfffffc10, v11
	v_cvt_f64_f32_e32 v[22:23], v5
	v_or_b32_e32 v9, v20, v9
	v_lshl_or_b32 v13, v11, 12, v7
	v_cmp_gt_i32_e32 vcc, 1, v11
	v_cndmask_b32_e32 v9, v13, v9, vcc
	v_and_b32_e32 v13, 7, v9
	v_cmp_lt_i32_e32 vcc, 5, v13
	v_cmp_eq_u32_e64 s[0:1], 3, v13
	v_mul_f64 v[22:23], v[22:23], s[2:3]
	v_lshrrev_b32_e32 v9, 2, v9
	s_or_b64 vcc, s[0:1], vcc
	v_addc_co_u32_e32 v5, vcc, 0, v9, vcc
	v_cmp_gt_i32_e32 vcc, 31, v11
	v_cndmask_b32_e32 v5, v15, v5, vcc
	v_cmp_ne_u32_e32 vcc, 0, v7
	v_cndmask_b32_e64 v7, 0, 1, vcc
	v_lshl_or_b32 v7, v7, 9, v15
	v_cmp_eq_u32_e32 vcc, s10, v11
	v_cndmask_b32_e32 v5, v5, v7, vcc
	v_lshrrev_b32_e32 v7, 16, v21
	v_and_or_b32 v5, v7, s11, v5
	v_and_or_b32 v7, v23, s6, v22
	v_cmp_ne_u32_e32 vcc, 0, v7
	v_cndmask_b32_e64 v7, 0, 1, vcc
	v_lshrrev_b32_e32 v9, 8, v23
	v_bfe_u32 v11, v23, 20, 11
	v_and_or_b32 v7, v9, s7, v7
	v_sub_u32_e32 v13, 0x3f1, v11
	v_or_b32_e32 v9, 0x1000, v7
	v_med3_i32 v13, v13, 0, 13
	v_lshrrev_b32_e32 v20, v13, v9
	v_lshlrev_b32_e32 v13, v13, v20
	v_cmp_ne_u32_e32 vcc, v13, v9
	v_cndmask_b32_e64 v9, 0, 1, vcc
	v_add_u32_e32 v11, 0xfffffc10, v11
	v_or_b32_e32 v9, v20, v9
	v_lshl_or_b32 v13, v11, 12, v7
	v_cmp_gt_i32_e32 vcc, 1, v11
	v_cndmask_b32_e32 v9, v13, v9, vcc
	v_and_b32_e32 v13, 7, v9
	v_cmp_lt_i32_e32 vcc, 5, v13
	v_cmp_eq_u32_e64 s[0:1], 3, v13
	v_lshrrev_b32_e32 v13, 16, v6
	v_mul_f16_sdwa v20, v95, v13 dst_sel:DWORD dst_unused:UNUSED_PAD src0_sel:WORD_1 src1_sel:DWORD
	v_fma_f16 v20, v95, v6, v20
	v_cvt_f32_f16_e32 v20, v20
	v_lshrrev_b32_e32 v9, 2, v9
	s_or_b64 vcc, s[0:1], vcc
	v_addc_co_u32_e32 v9, vcc, 0, v9, vcc
	v_cvt_f64_f32_e32 v[20:21], v20
	v_cmp_gt_i32_e32 vcc, 31, v11
	v_cndmask_b32_e32 v9, v15, v9, vcc
	v_cmp_ne_u32_e32 vcc, 0, v7
	v_mul_f64 v[20:21], v[20:21], s[2:3]
	v_cndmask_b32_e64 v7, 0, 1, vcc
	v_lshl_or_b32 v7, v7, 9, v15
	v_cmp_eq_u32_e32 vcc, s10, v11
	v_cndmask_b32_e32 v7, v9, v7, vcc
	v_lshrrev_b32_e32 v9, 16, v23
	v_and_or_b32 v7, v9, s11, v7
	v_and_b32_e32 v5, 0xffff, v5
	v_lshl_or_b32 v5, v7, 16, v5
	v_mov_b32_e32 v7, s4
	v_add_co_u32_e32 v18, vcc, s5, v18
	v_addc_co_u32_e32 v19, vcc, v19, v7, vcc
	global_store_dword v[18:19], v5, off
	v_and_or_b32 v5, v21, s6, v20
	v_cmp_ne_u32_e32 vcc, 0, v5
	v_cndmask_b32_e64 v5, 0, 1, vcc
	v_lshrrev_b32_e32 v7, 8, v21
	v_and_or_b32 v9, v7, s7, v5
	v_bfe_u32 v7, v21, 20, 11
	v_sub_u32_e32 v11, 0x3f1, v7
	v_or_b32_e32 v5, 0x1000, v9
	v_med3_i32 v11, v11, 0, 13
	v_lshrrev_b32_e32 v20, v11, v5
	v_lshlrev_b32_e32 v11, v11, v20
	v_mul_f16_sdwa v6, v95, v6 dst_sel:DWORD dst_unused:UNUSED_PAD src0_sel:WORD_1 src1_sel:DWORD
	v_cmp_ne_u32_e32 vcc, v11, v5
	v_fma_f16 v6, v95, v13, -v6
	v_cndmask_b32_e64 v5, 0, 1, vcc
	v_add_u32_e32 v11, 0xfffffc10, v7
	v_cvt_f32_f16_e32 v6, v6
	v_or_b32_e32 v5, v20, v5
	v_lshl_or_b32 v7, v11, 12, v9
	v_cmp_gt_i32_e32 vcc, 1, v11
	v_cndmask_b32_e32 v5, v7, v5, vcc
	v_and_b32_e32 v7, 7, v5
	v_cmp_lt_i32_e32 vcc, 5, v7
	v_cmp_eq_u32_e64 s[0:1], 3, v7
	v_lshrrev_b32_e32 v7, 2, v5
	v_cvt_f64_f32_e32 v[5:6], v6
	s_or_b64 vcc, s[0:1], vcc
	v_addc_co_u32_e32 v7, vcc, 0, v7, vcc
	v_cmp_gt_i32_e32 vcc, 31, v11
	v_cndmask_b32_e32 v13, v15, v7, vcc
	v_mul_f64 v[6:7], v[5:6], s[2:3]
	v_cmp_ne_u32_e32 vcc, 0, v9
	v_cndmask_b32_e64 v5, 0, 1, vcc
	v_lshl_or_b32 v5, v5, 9, v15
	v_cmp_eq_u32_e32 vcc, s10, v11
	v_cndmask_b32_e32 v5, v13, v5, vcc
	v_lshrrev_b32_e32 v9, 16, v21
	v_and_or_b32 v9, v9, s11, v5
	v_and_or_b32 v5, v7, s6, v6
	v_cmp_ne_u32_e32 vcc, 0, v5
	v_cndmask_b32_e64 v5, 0, 1, vcc
	v_lshrrev_b32_e32 v6, 8, v7
	v_and_or_b32 v11, v6, s7, v5
	v_bfe_u32 v6, v7, 20, 11
	v_sub_u32_e32 v13, 0x3f1, v6
	v_or_b32_e32 v5, 0x1000, v11
	v_med3_i32 v13, v13, 0, 13
	v_lshrrev_b32_e32 v20, v13, v5
	v_lshlrev_b32_e32 v13, v13, v20
	v_cmp_ne_u32_e32 vcc, v13, v5
	v_cndmask_b32_e64 v5, 0, 1, vcc
	v_add_u32_e32 v13, 0xfffffc10, v6
	v_or_b32_e32 v5, v20, v5
	v_lshl_or_b32 v6, v13, 12, v11
	v_cmp_gt_i32_e32 vcc, 1, v13
	v_cndmask_b32_e32 v5, v6, v5, vcc
	v_and_b32_e32 v6, 7, v5
	v_cmp_lt_i32_e32 vcc, 5, v6
	v_cmp_eq_u32_e64 s[0:1], 3, v6
	v_lshrrev_b32_e32 v5, 2, v5
	s_or_b64 vcc, s[0:1], vcc
	v_addc_co_u32_e32 v20, vcc, 0, v5, vcc
	ds_read2_b32 v[5:6], v99 offset0:96 offset1:216
	v_cmp_gt_i32_e32 vcc, 31, v13
	v_cndmask_b32_e32 v20, v15, v20, vcc
	v_cmp_ne_u32_e32 vcc, 0, v11
	v_cndmask_b32_e64 v11, 0, 1, vcc
	s_waitcnt lgkmcnt(0)
	v_lshrrev_b32_e32 v22, 16, v5
	v_mul_f16_sdwa v21, v94, v22 dst_sel:DWORD dst_unused:UNUSED_PAD src0_sel:WORD_1 src1_sel:DWORD
	v_fma_f16 v21, v94, v5, v21
	v_cvt_f32_f16_e32 v21, v21
	v_lshl_or_b32 v11, v11, 9, v15
	v_cmp_eq_u32_e32 vcc, s10, v13
	v_cndmask_b32_e32 v11, v20, v11, vcc
	v_cvt_f64_f32_e32 v[20:21], v21
	v_mad_u64_u32 v[18:19], s[0:1], s8, v80, v[18:19]
	v_lshrrev_b32_e32 v7, 16, v7
	v_mul_f64 v[20:21], v[20:21], s[2:3]
	s_mul_i32 s0, s9, 0xffffcf40
	v_and_or_b32 v7, v7, s11, v11
	v_and_b32_e32 v9, 0xffff, v9
	s_sub_i32 s12, s0, s8
	v_lshl_or_b32 v7, v7, 16, v9
	v_add_u32_e32 v19, s12, v19
	global_store_dword v[18:19], v7, off
	v_and_or_b32 v7, v21, s6, v20
	v_cmp_ne_u32_e32 vcc, 0, v7
	v_cndmask_b32_e64 v7, 0, 1, vcc
	v_lshrrev_b32_e32 v9, 8, v21
	v_bfe_u32 v11, v21, 20, 11
	v_mul_f16_sdwa v5, v94, v5 dst_sel:DWORD dst_unused:UNUSED_PAD src0_sel:WORD_1 src1_sel:DWORD
	v_and_or_b32 v7, v9, s7, v7
	v_sub_u32_e32 v13, 0x3f1, v11
	v_fma_f16 v5, v94, v22, -v5
	v_or_b32_e32 v9, 0x1000, v7
	v_med3_i32 v13, v13, 0, 13
	v_cvt_f32_f16_e32 v5, v5
	v_lshrrev_b32_e32 v20, v13, v9
	v_lshlrev_b32_e32 v13, v13, v20
	v_cmp_ne_u32_e32 vcc, v13, v9
	v_cndmask_b32_e64 v9, 0, 1, vcc
	v_add_u32_e32 v11, 0xfffffc10, v11
	v_cvt_f64_f32_e32 v[22:23], v5
	v_or_b32_e32 v9, v20, v9
	v_lshl_or_b32 v13, v11, 12, v7
	v_cmp_gt_i32_e32 vcc, 1, v11
	v_cndmask_b32_e32 v9, v13, v9, vcc
	v_and_b32_e32 v13, 7, v9
	v_cmp_lt_i32_e32 vcc, 5, v13
	v_cmp_eq_u32_e64 s[0:1], 3, v13
	v_mul_f64 v[22:23], v[22:23], s[2:3]
	v_lshrrev_b32_e32 v9, 2, v9
	s_or_b64 vcc, s[0:1], vcc
	v_addc_co_u32_e32 v5, vcc, 0, v9, vcc
	v_cmp_gt_i32_e32 vcc, 31, v11
	v_cndmask_b32_e32 v5, v15, v5, vcc
	v_cmp_ne_u32_e32 vcc, 0, v7
	v_cndmask_b32_e64 v7, 0, 1, vcc
	v_lshl_or_b32 v7, v7, 9, v15
	v_cmp_eq_u32_e32 vcc, s10, v11
	v_cndmask_b32_e32 v5, v5, v7, vcc
	v_lshrrev_b32_e32 v7, 16, v21
	v_and_or_b32 v5, v7, s11, v5
	v_and_or_b32 v7, v23, s6, v22
	v_cmp_ne_u32_e32 vcc, 0, v7
	v_cndmask_b32_e64 v7, 0, 1, vcc
	v_lshrrev_b32_e32 v9, 8, v23
	v_bfe_u32 v11, v23, 20, 11
	v_and_or_b32 v7, v9, s7, v7
	v_sub_u32_e32 v13, 0x3f1, v11
	v_or_b32_e32 v9, 0x1000, v7
	v_med3_i32 v13, v13, 0, 13
	v_lshrrev_b32_e32 v20, v13, v9
	v_lshlrev_b32_e32 v13, v13, v20
	v_cmp_ne_u32_e32 vcc, v13, v9
	v_cndmask_b32_e64 v9, 0, 1, vcc
	v_add_u32_e32 v11, 0xfffffc10, v11
	v_or_b32_e32 v9, v20, v9
	v_lshl_or_b32 v13, v11, 12, v7
	v_cmp_gt_i32_e32 vcc, 1, v11
	v_cndmask_b32_e32 v9, v13, v9, vcc
	v_and_b32_e32 v13, 7, v9
	v_cmp_lt_i32_e32 vcc, 5, v13
	v_cmp_eq_u32_e64 s[0:1], 3, v13
	v_lshrrev_b32_e32 v13, 16, v8
	v_mul_f16_sdwa v20, v91, v13 dst_sel:DWORD dst_unused:UNUSED_PAD src0_sel:WORD_1 src1_sel:DWORD
	v_fma_f16 v20, v91, v8, v20
	v_cvt_f32_f16_e32 v20, v20
	v_lshrrev_b32_e32 v9, 2, v9
	s_or_b64 vcc, s[0:1], vcc
	v_addc_co_u32_e32 v9, vcc, 0, v9, vcc
	v_cvt_f64_f32_e32 v[20:21], v20
	v_cmp_gt_i32_e32 vcc, 31, v11
	v_cndmask_b32_e32 v9, v15, v9, vcc
	v_cmp_ne_u32_e32 vcc, 0, v7
	v_mul_f64 v[20:21], v[20:21], s[2:3]
	v_cndmask_b32_e64 v7, 0, 1, vcc
	v_lshl_or_b32 v7, v7, 9, v15
	v_cmp_eq_u32_e32 vcc, s10, v11
	v_cndmask_b32_e32 v7, v9, v7, vcc
	v_lshrrev_b32_e32 v9, 16, v23
	v_and_or_b32 v7, v9, s11, v7
	v_and_b32_e32 v5, 0xffff, v5
	v_lshl_or_b32 v5, v7, 16, v5
	v_mov_b32_e32 v7, s4
	v_add_co_u32_e32 v18, vcc, s5, v18
	v_addc_co_u32_e32 v19, vcc, v19, v7, vcc
	global_store_dword v[18:19], v5, off
	v_and_or_b32 v5, v21, s6, v20
	v_cmp_ne_u32_e32 vcc, 0, v5
	v_cndmask_b32_e64 v5, 0, 1, vcc
	v_lshrrev_b32_e32 v7, 8, v21
	v_bfe_u32 v9, v21, 20, 11
	v_and_or_b32 v5, v7, s7, v5
	v_sub_u32_e32 v11, 0x3f1, v9
	v_or_b32_e32 v7, 0x1000, v5
	v_med3_i32 v11, v11, 0, 13
	v_lshrrev_b32_e32 v20, v11, v7
	v_lshlrev_b32_e32 v11, v11, v20
	v_mul_f16_sdwa v8, v91, v8 dst_sel:DWORD dst_unused:UNUSED_PAD src0_sel:WORD_1 src1_sel:DWORD
	v_cmp_ne_u32_e32 vcc, v11, v7
	v_fma_f16 v8, v91, v13, -v8
	v_cndmask_b32_e64 v7, 0, 1, vcc
	v_add_u32_e32 v11, 0xfffffc10, v9
	v_cvt_f32_f16_e32 v8, v8
	v_or_b32_e32 v7, v20, v7
	v_lshl_or_b32 v9, v11, 12, v5
	v_cmp_gt_i32_e32 vcc, 1, v11
	v_cndmask_b32_e32 v7, v9, v7, vcc
	v_and_b32_e32 v9, 7, v7
	v_cmp_lt_i32_e32 vcc, 5, v9
	v_cmp_eq_u32_e64 s[0:1], 3, v9
	v_lshrrev_b32_e32 v9, 2, v7
	v_cvt_f64_f32_e32 v[7:8], v8
	s_or_b64 vcc, s[0:1], vcc
	v_addc_co_u32_e32 v9, vcc, 0, v9, vcc
	v_cmp_gt_i32_e32 vcc, 31, v11
	v_cndmask_b32_e32 v13, v15, v9, vcc
	v_mul_f64 v[8:9], v[7:8], s[2:3]
	v_cmp_ne_u32_e32 vcc, 0, v5
	v_cndmask_b32_e64 v5, 0, 1, vcc
	v_lshl_or_b32 v5, v5, 9, v15
	v_cmp_eq_u32_e32 vcc, s10, v11
	v_cndmask_b32_e32 v5, v13, v5, vcc
	v_lshrrev_b32_e32 v7, 16, v21
	v_and_or_b32 v5, v7, s11, v5
	v_and_or_b32 v7, v9, s6, v8
	v_cmp_ne_u32_e32 vcc, 0, v7
	v_cndmask_b32_e64 v7, 0, 1, vcc
	v_lshrrev_b32_e32 v8, 8, v9
	v_and_or_b32 v11, v8, s7, v7
	v_bfe_u32 v8, v9, 20, 11
	v_sub_u32_e32 v13, 0x3f1, v8
	v_or_b32_e32 v7, 0x1000, v11
	v_med3_i32 v13, v13, 0, 13
	v_lshrrev_b32_e32 v20, v13, v7
	v_lshlrev_b32_e32 v13, v13, v20
	v_cmp_ne_u32_e32 vcc, v13, v7
	v_cndmask_b32_e64 v7, 0, 1, vcc
	v_add_u32_e32 v13, 0xfffffc10, v8
	v_or_b32_e32 v7, v20, v7
	v_lshl_or_b32 v8, v13, 12, v11
	v_cmp_gt_i32_e32 vcc, 1, v13
	v_cndmask_b32_e32 v7, v8, v7, vcc
	v_and_b32_e32 v8, 7, v7
	v_cmp_lt_i32_e32 vcc, 5, v8
	v_cmp_eq_u32_e64 s[0:1], 3, v8
	v_lshrrev_b32_e32 v7, 2, v7
	s_or_b64 vcc, s[0:1], vcc
	v_addc_co_u32_e32 v20, vcc, 0, v7, vcc
	ds_read2_b32 v[7:8], v97 offset0:48 offset1:168
	v_cmp_gt_i32_e32 vcc, 31, v13
	v_cndmask_b32_e32 v20, v15, v20, vcc
	v_cmp_ne_u32_e32 vcc, 0, v11
	v_cndmask_b32_e64 v11, 0, 1, vcc
	s_waitcnt lgkmcnt(0)
	v_lshrrev_b32_e32 v22, 16, v7
	v_mul_f16_sdwa v21, v92, v22 dst_sel:DWORD dst_unused:UNUSED_PAD src0_sel:WORD_1 src1_sel:DWORD
	v_fma_f16 v21, v92, v7, v21
	v_cvt_f32_f16_e32 v21, v21
	v_lshl_or_b32 v11, v11, 9, v15
	v_cmp_eq_u32_e32 vcc, s10, v13
	v_cndmask_b32_e32 v11, v20, v11, vcc
	v_cvt_f64_f32_e32 v[20:21], v21
	v_lshrrev_b32_e32 v9, 16, v9
	v_and_or_b32 v9, v9, s11, v11
	v_and_b32_e32 v5, 0xffff, v5
	v_mul_f64 v[20:21], v[20:21], s[2:3]
	v_lshl_or_b32 v5, v9, 16, v5
	v_mov_b32_e32 v9, s4
	v_add_co_u32_e32 v18, vcc, s5, v18
	v_addc_co_u32_e32 v19, vcc, v19, v9, vcc
	global_store_dword v[18:19], v5, off
	v_and_or_b32 v5, v21, s6, v20
	v_cmp_ne_u32_e32 vcc, 0, v5
	v_cndmask_b32_e64 v5, 0, 1, vcc
	v_lshrrev_b32_e32 v9, 8, v21
	v_bfe_u32 v11, v21, 20, 11
	v_mul_f16_sdwa v7, v92, v7 dst_sel:DWORD dst_unused:UNUSED_PAD src0_sel:WORD_1 src1_sel:DWORD
	v_and_or_b32 v5, v9, s7, v5
	v_sub_u32_e32 v13, 0x3f1, v11
	v_fma_f16 v7, v92, v22, -v7
	v_or_b32_e32 v9, 0x1000, v5
	v_med3_i32 v13, v13, 0, 13
	v_cvt_f32_f16_e32 v7, v7
	v_lshrrev_b32_e32 v20, v13, v9
	v_lshlrev_b32_e32 v13, v13, v20
	v_cmp_ne_u32_e32 vcc, v13, v9
	v_cndmask_b32_e64 v9, 0, 1, vcc
	v_add_u32_e32 v11, 0xfffffc10, v11
	v_cvt_f64_f32_e32 v[22:23], v7
	v_or_b32_e32 v9, v20, v9
	v_lshl_or_b32 v13, v11, 12, v5
	v_cmp_gt_i32_e32 vcc, 1, v11
	v_cndmask_b32_e32 v9, v13, v9, vcc
	v_and_b32_e32 v13, 7, v9
	v_cmp_lt_i32_e32 vcc, 5, v13
	v_cmp_eq_u32_e64 s[0:1], 3, v13
	v_mul_f64 v[22:23], v[22:23], s[2:3]
	v_lshrrev_b32_e32 v9, 2, v9
	s_or_b64 vcc, s[0:1], vcc
	v_addc_co_u32_e32 v7, vcc, 0, v9, vcc
	v_cmp_gt_i32_e32 vcc, 31, v11
	v_cndmask_b32_e32 v7, v15, v7, vcc
	v_cmp_ne_u32_e32 vcc, 0, v5
	v_cndmask_b32_e64 v5, 0, 1, vcc
	v_lshl_or_b32 v5, v5, 9, v15
	v_cmp_eq_u32_e32 vcc, s10, v11
	v_cndmask_b32_e32 v5, v7, v5, vcc
	v_lshrrev_b32_e32 v7, 16, v21
	v_and_or_b32 v5, v7, s11, v5
	v_and_or_b32 v7, v23, s6, v22
	v_cmp_ne_u32_e32 vcc, 0, v7
	v_cndmask_b32_e64 v7, 0, 1, vcc
	v_lshrrev_b32_e32 v9, 8, v23
	v_bfe_u32 v11, v23, 20, 11
	v_and_or_b32 v7, v9, s7, v7
	v_sub_u32_e32 v13, 0x3f1, v11
	v_or_b32_e32 v9, 0x1000, v7
	v_med3_i32 v13, v13, 0, 13
	v_lshrrev_b32_e32 v20, v13, v9
	v_lshlrev_b32_e32 v13, v13, v20
	v_cmp_ne_u32_e32 vcc, v13, v9
	v_cndmask_b32_e64 v9, 0, 1, vcc
	v_add_u32_e32 v11, 0xfffffc10, v11
	v_or_b32_e32 v9, v20, v9
	v_lshl_or_b32 v13, v11, 12, v7
	v_cmp_gt_i32_e32 vcc, 1, v11
	v_cndmask_b32_e32 v9, v13, v9, vcc
	v_and_b32_e32 v13, 7, v9
	v_cmp_lt_i32_e32 vcc, 5, v13
	v_cmp_eq_u32_e64 s[0:1], 3, v13
	v_lshrrev_b32_e32 v13, 16, v10
	v_mul_f16_sdwa v20, v89, v13 dst_sel:DWORD dst_unused:UNUSED_PAD src0_sel:WORD_1 src1_sel:DWORD
	v_fma_f16 v20, v89, v10, v20
	v_cvt_f32_f16_e32 v20, v20
	v_lshrrev_b32_e32 v9, 2, v9
	s_or_b64 vcc, s[0:1], vcc
	v_addc_co_u32_e32 v9, vcc, 0, v9, vcc
	v_cvt_f64_f32_e32 v[20:21], v20
	v_cmp_gt_i32_e32 vcc, 31, v11
	v_cndmask_b32_e32 v9, v15, v9, vcc
	v_cmp_ne_u32_e32 vcc, 0, v7
	v_mul_f64 v[20:21], v[20:21], s[2:3]
	v_cndmask_b32_e64 v7, 0, 1, vcc
	v_lshl_or_b32 v7, v7, 9, v15
	v_cmp_eq_u32_e32 vcc, s10, v11
	v_cndmask_b32_e32 v7, v9, v7, vcc
	v_lshrrev_b32_e32 v9, 16, v23
	v_and_or_b32 v7, v9, s11, v7
	v_and_b32_e32 v5, 0xffff, v5
	v_lshl_or_b32 v5, v7, 16, v5
	v_mov_b32_e32 v7, s4
	v_add_co_u32_e32 v18, vcc, s5, v18
	v_addc_co_u32_e32 v19, vcc, v19, v7, vcc
	global_store_dword v[18:19], v5, off
	v_and_or_b32 v5, v21, s6, v20
	v_cmp_ne_u32_e32 vcc, 0, v5
	v_cndmask_b32_e64 v5, 0, 1, vcc
	v_lshrrev_b32_e32 v7, 8, v21
	v_bfe_u32 v9, v21, 20, 11
	v_and_or_b32 v5, v7, s7, v5
	v_sub_u32_e32 v11, 0x3f1, v9
	v_or_b32_e32 v7, 0x1000, v5
	v_med3_i32 v11, v11, 0, 13
	v_lshrrev_b32_e32 v20, v11, v7
	v_lshlrev_b32_e32 v11, v11, v20
	v_cmp_ne_u32_e32 vcc, v11, v7
	v_mul_f16_sdwa v10, v89, v10 dst_sel:DWORD dst_unused:UNUSED_PAD src0_sel:WORD_1 src1_sel:DWORD
	v_cndmask_b32_e64 v7, 0, 1, vcc
	v_fma_f16 v10, v89, v13, -v10
	v_or_b32_e32 v7, v20, v7
	v_add_u32_e32 v20, 0xfffffc10, v9
	v_cvt_f32_f16_e32 v10, v10
	v_lshl_or_b32 v9, v20, 12, v5
	v_cmp_gt_i32_e32 vcc, 1, v20
	v_cndmask_b32_e32 v7, v9, v7, vcc
	v_and_b32_e32 v9, 7, v7
	v_cmp_lt_i32_e32 vcc, 5, v9
	v_cmp_eq_u32_e64 s[0:1], 3, v9
	v_cvt_f64_f32_e32 v[9:10], v10
	v_lshrrev_b32_e32 v7, 2, v7
	s_or_b64 vcc, s[0:1], vcc
	v_addc_co_u32_e32 v7, vcc, 0, v7, vcc
	v_mul_f64 v[10:11], v[9:10], s[2:3]
	v_cmp_gt_i32_e32 vcc, 31, v20
	v_cndmask_b32_e32 v7, v15, v7, vcc
	v_cmp_ne_u32_e32 vcc, 0, v5
	v_cndmask_b32_e64 v5, 0, 1, vcc
	v_lshl_or_b32 v5, v5, 9, v15
	v_cmp_eq_u32_e32 vcc, s10, v20
	v_cndmask_b32_e32 v5, v7, v5, vcc
	v_lshrrev_b32_e32 v7, 16, v21
	v_and_or_b32 v5, v7, s11, v5
	v_and_or_b32 v7, v11, s6, v10
	v_cmp_ne_u32_e32 vcc, 0, v7
	v_cndmask_b32_e64 v7, 0, 1, vcc
	v_lshrrev_b32_e32 v9, 8, v11
	v_bfe_u32 v10, v11, 20, 11
	v_and_or_b32 v7, v9, s7, v7
	v_sub_u32_e32 v13, 0x3f1, v10
	v_or_b32_e32 v9, 0x1000, v7
	v_med3_i32 v13, v13, 0, 13
	v_lshrrev_b32_e32 v20, v13, v9
	v_lshlrev_b32_e32 v13, v13, v20
	v_cmp_ne_u32_e32 vcc, v13, v9
	v_cndmask_b32_e64 v9, 0, 1, vcc
	v_add_u32_e32 v13, 0xfffffc10, v10
	v_or_b32_e32 v9, v20, v9
	v_lshl_or_b32 v10, v13, 12, v7
	v_cmp_gt_i32_e32 vcc, 1, v13
	v_cndmask_b32_e32 v9, v10, v9, vcc
	v_and_b32_e32 v10, 7, v9
	v_cmp_lt_i32_e32 vcc, 5, v10
	v_cmp_eq_u32_e64 s[0:1], 3, v10
	v_lshrrev_b32_e32 v9, 2, v9
	s_or_b64 vcc, s[0:1], vcc
	v_addc_co_u32_e32 v20, vcc, 0, v9, vcc
	ds_read2_b32 v[9:10], v96 offset0:128 offset1:248
	v_cmp_gt_i32_e32 vcc, 31, v13
	v_cndmask_b32_e32 v20, v15, v20, vcc
	v_cmp_ne_u32_e32 vcc, 0, v7
	v_cndmask_b32_e64 v7, 0, 1, vcc
	s_waitcnt lgkmcnt(0)
	v_lshrrev_b32_e32 v22, 16, v9
	v_mul_f16_sdwa v21, v90, v22 dst_sel:DWORD dst_unused:UNUSED_PAD src0_sel:WORD_1 src1_sel:DWORD
	v_fma_f16 v21, v90, v9, v21
	v_cvt_f32_f16_e32 v21, v21
	v_lshl_or_b32 v7, v7, 9, v15
	v_cmp_eq_u32_e32 vcc, s10, v13
	v_cndmask_b32_e32 v7, v20, v7, vcc
	v_cvt_f64_f32_e32 v[20:21], v21
	v_lshrrev_b32_e32 v11, 16, v11
	v_and_or_b32 v7, v11, s11, v7
	v_and_b32_e32 v5, 0xffff, v5
	v_mul_f64 v[20:21], v[20:21], s[2:3]
	v_lshl_or_b32 v5, v7, 16, v5
	v_mov_b32_e32 v7, s4
	v_add_co_u32_e32 v18, vcc, s5, v18
	v_addc_co_u32_e32 v19, vcc, v19, v7, vcc
	global_store_dword v[18:19], v5, off
	v_and_or_b32 v5, v21, s6, v20
	v_cmp_ne_u32_e32 vcc, 0, v5
	v_cndmask_b32_e64 v5, 0, 1, vcc
	v_lshrrev_b32_e32 v7, 8, v21
	v_bfe_u32 v11, v21, 20, 11
	v_mul_f16_sdwa v9, v90, v9 dst_sel:DWORD dst_unused:UNUSED_PAD src0_sel:WORD_1 src1_sel:DWORD
	v_and_or_b32 v5, v7, s7, v5
	v_sub_u32_e32 v13, 0x3f1, v11
	v_fma_f16 v9, v90, v22, -v9
	v_or_b32_e32 v7, 0x1000, v5
	v_med3_i32 v13, v13, 0, 13
	v_cvt_f32_f16_e32 v9, v9
	v_lshrrev_b32_e32 v20, v13, v7
	v_lshlrev_b32_e32 v13, v13, v20
	v_cmp_ne_u32_e32 vcc, v13, v7
	v_cndmask_b32_e64 v7, 0, 1, vcc
	v_add_u32_e32 v11, 0xfffffc10, v11
	v_cvt_f64_f32_e32 v[22:23], v9
	v_or_b32_e32 v7, v20, v7
	v_lshl_or_b32 v13, v11, 12, v5
	v_cmp_gt_i32_e32 vcc, 1, v11
	v_cndmask_b32_e32 v7, v13, v7, vcc
	v_and_b32_e32 v13, 7, v7
	v_cmp_lt_i32_e32 vcc, 5, v13
	v_cmp_eq_u32_e64 s[0:1], 3, v13
	v_mul_f64 v[22:23], v[22:23], s[2:3]
	v_lshrrev_b32_e32 v7, 2, v7
	s_or_b64 vcc, s[0:1], vcc
	v_addc_co_u32_e32 v7, vcc, 0, v7, vcc
	v_cmp_gt_i32_e32 vcc, 31, v11
	v_cndmask_b32_e32 v7, v15, v7, vcc
	v_cmp_ne_u32_e32 vcc, 0, v5
	v_cndmask_b32_e64 v5, 0, 1, vcc
	v_lshl_or_b32 v5, v5, 9, v15
	v_cmp_eq_u32_e32 vcc, s10, v11
	v_cndmask_b32_e32 v5, v7, v5, vcc
	v_lshrrev_b32_e32 v7, 16, v21
	v_and_or_b32 v7, v7, s11, v5
	v_and_or_b32 v5, v23, s6, v22
	v_cmp_ne_u32_e32 vcc, 0, v5
	v_cndmask_b32_e64 v5, 0, 1, vcc
	v_lshrrev_b32_e32 v9, 8, v23
	v_bfe_u32 v11, v23, 20, 11
	v_and_or_b32 v5, v9, s7, v5
	v_sub_u32_e32 v13, 0x3f1, v11
	v_or_b32_e32 v9, 0x1000, v5
	v_med3_i32 v13, v13, 0, 13
	v_lshrrev_b32_e32 v20, v13, v9
	v_lshlrev_b32_e32 v13, v13, v20
	v_cmp_ne_u32_e32 vcc, v13, v9
	v_cndmask_b32_e64 v9, 0, 1, vcc
	v_add_u32_e32 v11, 0xfffffc10, v11
	v_or_b32_e32 v9, v20, v9
	v_lshl_or_b32 v13, v11, 12, v5
	v_cmp_gt_i32_e32 vcc, 1, v11
	v_cndmask_b32_e32 v9, v13, v9, vcc
	v_and_b32_e32 v13, 7, v9
	v_cmp_lt_i32_e32 vcc, 5, v13
	v_cmp_eq_u32_e64 s[0:1], 3, v13
	v_lshrrev_b32_e32 v9, 2, v9
	s_or_b64 vcc, s[0:1], vcc
	v_addc_co_u32_e32 v9, vcc, 0, v9, vcc
	v_cmp_gt_i32_e32 vcc, 31, v11
	v_cndmask_b32_e32 v9, v15, v9, vcc
	v_cmp_ne_u32_e32 vcc, 0, v5
	v_cndmask_b32_e64 v5, 0, 1, vcc
	v_cmp_eq_u32_e32 vcc, s10, v11
	v_lshrrev_b32_e32 v11, 16, v12
	v_mad_u64_u32 v[20:21], s[0:1], s8, v88, 0
	v_mul_f16_sdwa v13, v86, v11 dst_sel:DWORD dst_unused:UNUSED_PAD src0_sel:WORD_1 src1_sel:DWORD
	v_fma_f16 v13, v86, v12, v13
	v_cvt_f32_f16_e32 v13, v13
	v_lshl_or_b32 v5, v5, 9, v15
	v_cndmask_b32_e32 v9, v9, v5, vcc
	v_mov_b32_e32 v5, v21
	v_mad_u64_u32 v[21:22], s[0:1], s9, v88, v[5:6]
	v_lshrrev_b32_e32 v5, 16, v23
	v_cvt_f64_f32_e32 v[22:23], v13
	v_lshlrev_b64 v[20:21], 2, v[20:21]
	v_and_or_b32 v5, v5, s11, v9
	v_and_b32_e32 v7, 0xffff, v7
	v_mul_f64 v[22:23], v[22:23], s[2:3]
	v_add_co_u32_e32 v16, vcc, v16, v20
	v_lshl_or_b32 v5, v5, 16, v7
	v_addc_co_u32_e32 v17, vcc, v17, v21, vcc
	global_store_dword v[16:17], v5, off
	v_mul_f16_sdwa v12, v86, v12 dst_sel:DWORD dst_unused:UNUSED_PAD src0_sel:WORD_1 src1_sel:DWORD
	v_and_or_b32 v5, v23, s6, v22
	v_cmp_ne_u32_e32 vcc, 0, v5
	v_cndmask_b32_e64 v5, 0, 1, vcc
	v_lshrrev_b32_e32 v7, 8, v23
	v_bfe_u32 v9, v23, 20, 11
	v_and_or_b32 v5, v7, s7, v5
	v_sub_u32_e32 v13, 0x3f1, v9
	v_fma_f16 v11, v86, v11, -v12
	v_or_b32_e32 v7, 0x1000, v5
	v_med3_i32 v13, v13, 0, 13
	v_cvt_f32_f16_e32 v11, v11
	v_lshrrev_b32_e32 v16, v13, v7
	v_lshlrev_b32_e32 v13, v13, v16
	v_cmp_ne_u32_e32 vcc, v13, v7
	v_cndmask_b32_e64 v7, 0, 1, vcc
	v_add_u32_e32 v9, 0xfffffc10, v9
	v_cvt_f64_f32_e32 v[11:12], v11
	v_or_b32_e32 v7, v16, v7
	v_lshl_or_b32 v13, v9, 12, v5
	v_cmp_gt_i32_e32 vcc, 1, v9
	v_cndmask_b32_e32 v7, v13, v7, vcc
	v_and_b32_e32 v13, 7, v7
	v_cmp_lt_i32_e32 vcc, 5, v13
	v_cmp_eq_u32_e64 s[0:1], 3, v13
	v_mul_f64 v[12:13], v[11:12], s[2:3]
	v_lshrrev_b32_e32 v7, 2, v7
	s_or_b64 vcc, s[0:1], vcc
	v_addc_co_u32_e32 v7, vcc, 0, v7, vcc
	v_cmp_gt_i32_e32 vcc, 31, v9
	v_cndmask_b32_e32 v7, v15, v7, vcc
	v_cmp_ne_u32_e32 vcc, 0, v5
	v_cndmask_b32_e64 v5, 0, 1, vcc
	v_lshl_or_b32 v5, v5, 9, v15
	v_cmp_eq_u32_e32 vcc, s10, v9
	v_cndmask_b32_e32 v5, v7, v5, vcc
	v_lshrrev_b32_e32 v7, 16, v23
	v_and_or_b32 v5, v7, s11, v5
	v_and_or_b32 v7, v13, s6, v12
	v_cmp_ne_u32_e32 vcc, 0, v7
	v_cndmask_b32_e64 v7, 0, 1, vcc
	v_lshrrev_b32_e32 v9, 8, v13
	v_bfe_u32 v11, v13, 20, 11
	v_and_or_b32 v7, v9, s7, v7
	v_sub_u32_e32 v12, 0x3f1, v11
	v_or_b32_e32 v9, 0x1000, v7
	v_med3_i32 v12, v12, 0, 13
	v_lshrrev_b32_e32 v16, v12, v9
	v_lshlrev_b32_e32 v12, v12, v16
	v_cmp_ne_u32_e32 vcc, v12, v9
	v_cndmask_b32_e64 v9, 0, 1, vcc
	v_add_u32_e32 v20, 0xfffffc10, v11
	v_or_b32_e32 v9, v16, v9
	v_lshl_or_b32 v11, v20, 12, v7
	v_cmp_gt_i32_e32 vcc, 1, v20
	v_cndmask_b32_e32 v9, v11, v9, vcc
	v_and_b32_e32 v11, 7, v9
	v_cmp_lt_i32_e32 vcc, 5, v11
	v_cmp_eq_u32_e64 s[0:1], 3, v11
	ds_read2_b32 v[11:12], v93 offset0:80 offset1:200
	v_lshrrev_b32_e32 v9, 2, v9
	s_or_b64 vcc, s[0:1], vcc
	v_addc_co_u32_e32 v9, vcc, 0, v9, vcc
	s_waitcnt lgkmcnt(0)
	v_lshrrev_b32_e32 v21, 16, v11
	v_mul_f16_sdwa v16, v84, v21 dst_sel:DWORD dst_unused:UNUSED_PAD src0_sel:WORD_1 src1_sel:DWORD
	v_fma_f16 v16, v84, v11, v16
	v_cvt_f32_f16_e32 v16, v16
	v_cmp_gt_i32_e32 vcc, 31, v20
	v_cndmask_b32_e32 v9, v15, v9, vcc
	v_cmp_ne_u32_e32 vcc, 0, v7
	v_cvt_f64_f32_e32 v[16:17], v16
	v_cndmask_b32_e64 v7, 0, 1, vcc
	v_mad_u64_u32 v[18:19], s[0:1], s8, v85, v[18:19]
	v_mul_f64 v[16:17], v[16:17], s[2:3]
	v_lshl_or_b32 v7, v7, 9, v15
	v_cmp_eq_u32_e32 vcc, s10, v20
	v_cndmask_b32_e32 v7, v9, v7, vcc
	v_lshrrev_b32_e32 v9, 16, v13
	v_and_or_b32 v7, v9, s11, v7
	v_and_b32_e32 v5, 0xffff, v5
	s_mul_i32 s0, s9, 0xb40
	v_lshl_or_b32 v5, v7, 16, v5
	v_add_u32_e32 v19, s0, v19
	global_store_dword v[18:19], v5, off
	v_and_or_b32 v5, v17, s6, v16
	v_cmp_ne_u32_e32 vcc, 0, v5
	v_cndmask_b32_e64 v5, 0, 1, vcc
	v_lshrrev_b32_e32 v7, 8, v17
	v_bfe_u32 v9, v17, 20, 11
	v_mul_f16_sdwa v11, v84, v11 dst_sel:DWORD dst_unused:UNUSED_PAD src0_sel:WORD_1 src1_sel:DWORD
	v_and_or_b32 v5, v7, s7, v5
	v_sub_u32_e32 v13, 0x3f1, v9
	v_fma_f16 v11, v84, v21, -v11
	v_or_b32_e32 v7, 0x1000, v5
	v_med3_i32 v13, v13, 0, 13
	v_cvt_f32_f16_e32 v11, v11
	v_lshrrev_b32_e32 v16, v13, v7
	v_lshlrev_b32_e32 v13, v13, v16
	v_cmp_ne_u32_e32 vcc, v13, v7
	v_cndmask_b32_e64 v7, 0, 1, vcc
	v_add_u32_e32 v9, 0xfffffc10, v9
	v_cvt_f64_f32_e32 v[20:21], v11
	v_or_b32_e32 v7, v16, v7
	v_lshl_or_b32 v13, v9, 12, v5
	v_cmp_gt_i32_e32 vcc, 1, v9
	v_cndmask_b32_e32 v7, v13, v7, vcc
	v_and_b32_e32 v13, 7, v7
	v_cmp_lt_i32_e32 vcc, 5, v13
	v_cmp_eq_u32_e64 s[0:1], 3, v13
	v_mul_f64 v[20:21], v[20:21], s[2:3]
	v_lshrrev_b32_e32 v7, 2, v7
	s_or_b64 vcc, s[0:1], vcc
	v_addc_co_u32_e32 v7, vcc, 0, v7, vcc
	v_cmp_gt_i32_e32 vcc, 31, v9
	v_cndmask_b32_e32 v7, v15, v7, vcc
	v_cmp_ne_u32_e32 vcc, 0, v5
	v_cndmask_b32_e64 v5, 0, 1, vcc
	v_lshl_or_b32 v5, v5, 9, v15
	v_cmp_eq_u32_e32 vcc, s10, v9
	v_cndmask_b32_e32 v5, v7, v5, vcc
	v_lshrrev_b32_e32 v7, 16, v17
	v_and_or_b32 v5, v7, s11, v5
	v_and_or_b32 v7, v21, s6, v20
	v_cmp_ne_u32_e32 vcc, 0, v7
	v_cndmask_b32_e64 v7, 0, 1, vcc
	v_lshrrev_b32_e32 v9, 8, v21
	v_bfe_u32 v11, v21, 20, 11
	v_and_or_b32 v7, v9, s7, v7
	v_sub_u32_e32 v13, 0x3f1, v11
	v_or_b32_e32 v9, 0x1000, v7
	v_med3_i32 v13, v13, 0, 13
	v_lshrrev_b32_e32 v16, v13, v9
	v_lshlrev_b32_e32 v13, v13, v16
	v_cmp_ne_u32_e32 vcc, v13, v9
	v_cndmask_b32_e64 v9, 0, 1, vcc
	v_add_u32_e32 v11, 0xfffffc10, v11
	v_or_b32_e32 v9, v16, v9
	v_lshl_or_b32 v13, v11, 12, v7
	v_cmp_gt_i32_e32 vcc, 1, v11
	v_cndmask_b32_e32 v9, v13, v9, vcc
	v_and_b32_e32 v13, 7, v9
	v_cmp_lt_i32_e32 vcc, 5, v13
	v_cmp_eq_u32_e64 s[0:1], 3, v13
	v_lshrrev_b32_e32 v13, 16, v14
	v_mul_f16_sdwa v16, v83, v13 dst_sel:DWORD dst_unused:UNUSED_PAD src0_sel:WORD_1 src1_sel:DWORD
	v_fma_f16 v16, v83, v14, v16
	v_cvt_f32_f16_e32 v16, v16
	v_lshrrev_b32_e32 v9, 2, v9
	s_or_b64 vcc, s[0:1], vcc
	v_addc_co_u32_e32 v9, vcc, 0, v9, vcc
	v_cvt_f64_f32_e32 v[16:17], v16
	v_cmp_gt_i32_e32 vcc, 31, v11
	v_cndmask_b32_e32 v9, v15, v9, vcc
	v_cmp_ne_u32_e32 vcc, 0, v7
	v_mul_f64 v[16:17], v[16:17], s[2:3]
	v_cndmask_b32_e64 v7, 0, 1, vcc
	v_lshl_or_b32 v7, v7, 9, v15
	v_cmp_eq_u32_e32 vcc, s10, v11
	v_cndmask_b32_e32 v7, v9, v7, vcc
	v_lshrrev_b32_e32 v9, 16, v21
	v_and_or_b32 v7, v9, s11, v7
	v_and_b32_e32 v5, 0xffff, v5
	v_lshl_or_b32 v5, v7, 16, v5
	v_mov_b32_e32 v7, s4
	v_add_co_u32_e32 v18, vcc, s5, v18
	v_addc_co_u32_e32 v19, vcc, v19, v7, vcc
	global_store_dword v[18:19], v5, off
	v_and_or_b32 v5, v17, s6, v16
	v_cmp_ne_u32_e32 vcc, 0, v5
	v_cndmask_b32_e64 v5, 0, 1, vcc
	v_lshrrev_b32_e32 v7, 8, v17
	v_bfe_u32 v9, v17, 20, 11
	v_mul_f16_sdwa v14, v83, v14 dst_sel:DWORD dst_unused:UNUSED_PAD src0_sel:WORD_1 src1_sel:DWORD
	v_and_or_b32 v5, v7, s7, v5
	v_sub_u32_e32 v11, 0x3f1, v9
	v_fma_f16 v13, v83, v13, -v14
	v_or_b32_e32 v7, 0x1000, v5
	v_med3_i32 v11, v11, 0, 13
	v_cvt_f32_f16_e32 v13, v13
	v_lshrrev_b32_e32 v16, v11, v7
	v_lshlrev_b32_e32 v11, v11, v16
	v_cmp_ne_u32_e32 vcc, v11, v7
	v_cndmask_b32_e64 v7, 0, 1, vcc
	v_add_u32_e32 v9, 0xfffffc10, v9
	v_cvt_f64_f32_e32 v[13:14], v13
	v_or_b32_e32 v7, v16, v7
	v_lshl_or_b32 v11, v9, 12, v5
	v_cmp_gt_i32_e32 vcc, 1, v9
	v_cndmask_b32_e32 v7, v11, v7, vcc
	v_and_b32_e32 v11, 7, v7
	v_cmp_lt_i32_e32 vcc, 5, v11
	v_cmp_eq_u32_e64 s[0:1], 3, v11
	v_mul_f64 v[20:21], v[13:14], s[2:3]
	v_lshrrev_b32_e32 v7, 2, v7
	s_or_b64 vcc, s[0:1], vcc
	v_addc_co_u32_e32 v7, vcc, 0, v7, vcc
	v_cmp_gt_i32_e32 vcc, 31, v9
	v_cndmask_b32_e32 v7, v15, v7, vcc
	v_cmp_ne_u32_e32 vcc, 0, v5
	v_cndmask_b32_e64 v5, 0, 1, vcc
	v_lshl_or_b32 v5, v5, 9, v15
	v_cmp_eq_u32_e32 vcc, s10, v9
	v_cndmask_b32_e32 v5, v7, v5, vcc
	v_lshrrev_b32_e32 v7, 16, v17
	v_and_or_b32 v5, v7, s11, v5
	v_and_or_b32 v7, v21, s6, v20
	v_cmp_ne_u32_e32 vcc, 0, v7
	v_cndmask_b32_e64 v7, 0, 1, vcc
	v_lshrrev_b32_e32 v9, 8, v21
	v_bfe_u32 v11, v21, 20, 11
	v_and_or_b32 v7, v9, s7, v7
	v_sub_u32_e32 v13, 0x3f1, v11
	v_or_b32_e32 v9, 0x1000, v7
	v_med3_i32 v13, v13, 0, 13
	v_lshrrev_b32_e32 v14, v13, v9
	v_lshlrev_b32_e32 v13, v13, v14
	v_cmp_ne_u32_e32 vcc, v13, v9
	v_cndmask_b32_e64 v9, 0, 1, vcc
	v_add_u32_e32 v11, 0xfffffc10, v11
	v_or_b32_e32 v9, v14, v9
	v_lshl_or_b32 v13, v11, 12, v7
	v_cmp_gt_i32_e32 vcc, 1, v11
	v_cndmask_b32_e32 v9, v13, v9, vcc
	v_and_b32_e32 v13, 7, v9
	v_cmp_lt_i32_e32 vcc, 5, v13
	v_cmp_eq_u32_e64 s[0:1], 3, v13
	ds_read2_b32 v[13:14], v87 offset0:32 offset1:152
	v_lshrrev_b32_e32 v9, 2, v9
	s_or_b64 vcc, s[0:1], vcc
	v_addc_co_u32_e32 v9, vcc, 0, v9, vcc
	s_waitcnt lgkmcnt(0)
	v_lshrrev_b32_e32 v20, 16, v13
	v_mul_f16_sdwa v16, v82, v20 dst_sel:DWORD dst_unused:UNUSED_PAD src0_sel:WORD_1 src1_sel:DWORD
	v_fma_f16 v16, v82, v13, v16
	v_cvt_f32_f16_e32 v16, v16
	v_cmp_gt_i32_e32 vcc, 31, v11
	v_cndmask_b32_e32 v9, v15, v9, vcc
	v_cmp_ne_u32_e32 vcc, 0, v7
	v_cvt_f64_f32_e32 v[16:17], v16
	v_cndmask_b32_e64 v7, 0, 1, vcc
	v_lshl_or_b32 v7, v7, 9, v15
	v_cmp_eq_u32_e32 vcc, s10, v11
	v_mul_f64 v[16:17], v[16:17], s[2:3]
	v_cndmask_b32_e32 v7, v9, v7, vcc
	v_lshrrev_b32_e32 v9, 16, v21
	v_and_or_b32 v7, v9, s11, v7
	v_and_b32_e32 v5, 0xffff, v5
	v_lshl_or_b32 v5, v7, 16, v5
	v_mov_b32_e32 v7, s4
	v_add_co_u32_e32 v18, vcc, s5, v18
	v_addc_co_u32_e32 v19, vcc, v19, v7, vcc
	global_store_dword v[18:19], v5, off
	v_and_or_b32 v5, v17, s6, v16
	v_cmp_ne_u32_e32 vcc, 0, v5
	v_cndmask_b32_e64 v5, 0, 1, vcc
	v_lshrrev_b32_e32 v7, 8, v17
	v_bfe_u32 v9, v17, 20, 11
	v_mul_f16_sdwa v13, v82, v13 dst_sel:DWORD dst_unused:UNUSED_PAD src0_sel:WORD_1 src1_sel:DWORD
	v_and_or_b32 v5, v7, s7, v5
	v_sub_u32_e32 v11, 0x3f1, v9
	v_fma_f16 v13, v82, v20, -v13
	v_or_b32_e32 v7, 0x1000, v5
	v_med3_i32 v11, v11, 0, 13
	v_cvt_f32_f16_e32 v13, v13
	v_lshrrev_b32_e32 v16, v11, v7
	v_lshlrev_b32_e32 v11, v11, v16
	v_cmp_ne_u32_e32 vcc, v11, v7
	v_cndmask_b32_e64 v7, 0, 1, vcc
	v_add_u32_e32 v9, 0xfffffc10, v9
	v_cvt_f64_f32_e32 v[20:21], v13
	v_or_b32_e32 v7, v16, v7
	v_lshl_or_b32 v11, v9, 12, v5
	v_cmp_gt_i32_e32 vcc, 1, v9
	v_cndmask_b32_e32 v7, v11, v7, vcc
	v_and_b32_e32 v11, 7, v7
	v_cmp_lt_i32_e32 vcc, 5, v11
	v_cmp_eq_u32_e64 s[0:1], 3, v11
	v_mul_f64 v[20:21], v[20:21], s[2:3]
	v_lshrrev_b32_e32 v7, 2, v7
	s_or_b64 vcc, s[0:1], vcc
	v_addc_co_u32_e32 v7, vcc, 0, v7, vcc
	v_cmp_gt_i32_e32 vcc, 31, v9
	v_cndmask_b32_e32 v7, v15, v7, vcc
	v_cmp_ne_u32_e32 vcc, 0, v5
	v_cndmask_b32_e64 v5, 0, 1, vcc
	v_lshl_or_b32 v5, v5, 9, v15
	v_cmp_eq_u32_e32 vcc, s10, v9
	v_cndmask_b32_e32 v5, v7, v5, vcc
	v_lshrrev_b32_e32 v7, 16, v17
	v_and_or_b32 v5, v7, s11, v5
	v_and_or_b32 v7, v21, s6, v20
	v_cmp_ne_u32_e32 vcc, 0, v7
	v_cndmask_b32_e64 v7, 0, 1, vcc
	v_lshrrev_b32_e32 v9, 8, v21
	v_bfe_u32 v11, v21, 20, 11
	v_and_or_b32 v7, v9, s7, v7
	v_sub_u32_e32 v13, 0x3f1, v11
	v_or_b32_e32 v9, 0x1000, v7
	v_med3_i32 v13, v13, 0, 13
	v_lshrrev_b32_e32 v16, v13, v9
	v_lshlrev_b32_e32 v13, v13, v16
	v_cmp_ne_u32_e32 vcc, v13, v9
	v_cndmask_b32_e64 v9, 0, 1, vcc
	v_add_u32_e32 v11, 0xfffffc10, v11
	v_or_b32_e32 v9, v16, v9
	v_lshl_or_b32 v13, v11, 12, v7
	v_cmp_gt_i32_e32 vcc, 1, v11
	v_cndmask_b32_e32 v9, v13, v9, vcc
	v_and_b32_e32 v13, 7, v9
	v_cmp_lt_i32_e32 vcc, 5, v13
	v_cmp_eq_u32_e64 s[0:1], 3, v13
	v_lshrrev_b32_e32 v13, 16, v0
	v_mul_f16_sdwa v16, v79, v13 dst_sel:DWORD dst_unused:UNUSED_PAD src0_sel:WORD_1 src1_sel:DWORD
	v_fma_f16 v16, v79, v0, v16
	v_cvt_f32_f16_e32 v16, v16
	v_lshrrev_b32_e32 v9, 2, v9
	s_or_b64 vcc, s[0:1], vcc
	v_addc_co_u32_e32 v9, vcc, 0, v9, vcc
	v_cvt_f64_f32_e32 v[16:17], v16
	v_cmp_gt_i32_e32 vcc, 31, v11
	v_cndmask_b32_e32 v9, v15, v9, vcc
	v_cmp_ne_u32_e32 vcc, 0, v7
	v_mul_f64 v[16:17], v[16:17], s[2:3]
	v_cndmask_b32_e64 v7, 0, 1, vcc
	v_lshl_or_b32 v7, v7, 9, v15
	v_cmp_eq_u32_e32 vcc, s10, v11
	v_cndmask_b32_e32 v7, v9, v7, vcc
	v_lshrrev_b32_e32 v9, 16, v21
	v_and_or_b32 v7, v9, s11, v7
	v_and_b32_e32 v5, 0xffff, v5
	v_lshl_or_b32 v5, v7, 16, v5
	v_mov_b32_e32 v7, s4
	v_add_co_u32_e32 v18, vcc, s5, v18
	v_addc_co_u32_e32 v19, vcc, v19, v7, vcc
	global_store_dword v[18:19], v5, off
	v_and_or_b32 v5, v17, s6, v16
	v_cmp_ne_u32_e32 vcc, 0, v5
	v_cndmask_b32_e64 v5, 0, 1, vcc
	v_lshrrev_b32_e32 v7, 8, v17
	v_bfe_u32 v9, v17, 20, 11
	v_mul_f16_sdwa v0, v79, v0 dst_sel:DWORD dst_unused:UNUSED_PAD src0_sel:WORD_1 src1_sel:DWORD
	v_and_or_b32 v5, v7, s7, v5
	v_sub_u32_e32 v11, 0x3f1, v9
	v_fma_f16 v0, v79, v13, -v0
	v_or_b32_e32 v7, 0x1000, v5
	v_med3_i32 v11, v11, 0, 13
	v_cvt_f32_f16_e32 v0, v0
	v_lshrrev_b32_e32 v16, v11, v7
	v_lshlrev_b32_e32 v11, v11, v16
	v_cmp_ne_u32_e32 vcc, v11, v7
	v_cndmask_b32_e64 v7, 0, 1, vcc
	v_add_u32_e32 v9, 0xfffffc10, v9
	v_cvt_f64_f32_e32 v[20:21], v0
	v_or_b32_e32 v7, v16, v7
	v_lshl_or_b32 v11, v9, 12, v5
	v_cmp_gt_i32_e32 vcc, 1, v9
	v_cndmask_b32_e32 v7, v11, v7, vcc
	v_and_b32_e32 v11, 7, v7
	v_cmp_lt_i32_e32 vcc, 5, v11
	v_cmp_eq_u32_e64 s[0:1], 3, v11
	v_mul_f64 v[20:21], v[20:21], s[2:3]
	v_lshrrev_b32_e32 v7, 2, v7
	s_or_b64 vcc, s[0:1], vcc
	v_addc_co_u32_e32 v0, vcc, 0, v7, vcc
	v_cmp_gt_i32_e32 vcc, 31, v9
	v_cndmask_b32_e32 v0, v15, v0, vcc
	v_cmp_ne_u32_e32 vcc, 0, v5
	v_cndmask_b32_e64 v5, 0, 1, vcc
	v_lshl_or_b32 v5, v5, 9, v15
	v_cmp_eq_u32_e32 vcc, s10, v9
	v_cndmask_b32_e32 v0, v0, v5, vcc
	v_lshrrev_b32_e32 v5, 16, v17
	v_and_or_b32 v0, v5, s11, v0
	v_and_or_b32 v5, v21, s6, v20
	v_cmp_ne_u32_e32 vcc, 0, v5
	v_cndmask_b32_e64 v5, 0, 1, vcc
	v_lshrrev_b32_e32 v7, 8, v21
	v_bfe_u32 v9, v21, 20, 11
	v_and_or_b32 v5, v7, s7, v5
	v_sub_u32_e32 v11, 0x3f1, v9
	v_or_b32_e32 v7, 0x1000, v5
	v_med3_i32 v11, v11, 0, 13
	v_lshrrev_b32_e32 v13, v11, v7
	v_lshlrev_b32_e32 v11, v11, v13
	v_cmp_ne_u32_e32 vcc, v11, v7
	v_cndmask_b32_e64 v7, 0, 1, vcc
	v_add_u32_e32 v9, 0xfffffc10, v9
	v_or_b32_e32 v7, v13, v7
	v_lshl_or_b32 v11, v9, 12, v5
	v_cmp_gt_i32_e32 vcc, 1, v9
	v_cndmask_b32_e32 v7, v11, v7, vcc
	v_and_b32_e32 v11, 7, v7
	v_cmp_lt_i32_e32 vcc, 5, v11
	v_cmp_eq_u32_e64 s[0:1], 3, v11
	v_lshrrev_b32_e32 v11, 16, v6
	v_mul_f16_sdwa v13, v78, v11 dst_sel:DWORD dst_unused:UNUSED_PAD src0_sel:WORD_1 src1_sel:DWORD
	v_fma_f16 v13, v78, v6, v13
	v_cvt_f32_f16_e32 v13, v13
	v_lshrrev_b32_e32 v7, 2, v7
	s_or_b64 vcc, s[0:1], vcc
	v_addc_co_u32_e32 v7, vcc, 0, v7, vcc
	v_cvt_f64_f32_e32 v[16:17], v13
	v_cmp_gt_i32_e32 vcc, 31, v9
	v_cndmask_b32_e32 v7, v15, v7, vcc
	v_cmp_ne_u32_e32 vcc, 0, v5
	v_mul_f64 v[16:17], v[16:17], s[2:3]
	v_cndmask_b32_e64 v5, 0, 1, vcc
	v_mad_u64_u32 v[18:19], s[0:1], s8, v80, v[18:19]
	v_lshl_or_b32 v5, v5, 9, v15
	v_cmp_eq_u32_e32 vcc, s10, v9
	v_cndmask_b32_e32 v5, v7, v5, vcc
	v_lshrrev_b32_e32 v7, 16, v21
	v_and_or_b32 v5, v7, s11, v5
	v_and_b32_e32 v0, 0xffff, v0
	v_lshl_or_b32 v0, v5, 16, v0
	v_add_u32_e32 v19, s12, v19
	global_store_dword v[18:19], v0, off
	v_and_or_b32 v0, v17, s6, v16
	v_cmp_ne_u32_e32 vcc, 0, v0
	v_cndmask_b32_e64 v0, 0, 1, vcc
	v_lshrrev_b32_e32 v5, 8, v17
	v_bfe_u32 v7, v17, 20, 11
	v_and_or_b32 v0, v5, s7, v0
	v_sub_u32_e32 v9, 0x3f1, v7
	v_or_b32_e32 v5, 0x1000, v0
	v_med3_i32 v9, v9, 0, 13
	v_lshrrev_b32_e32 v13, v9, v5
	v_lshlrev_b32_e32 v9, v9, v13
	v_mul_f16_sdwa v6, v78, v6 dst_sel:DWORD dst_unused:UNUSED_PAD src0_sel:WORD_1 src1_sel:DWORD
	v_cmp_ne_u32_e32 vcc, v9, v5
	v_fma_f16 v6, v78, v11, -v6
	v_cndmask_b32_e64 v5, 0, 1, vcc
	v_add_u32_e32 v7, 0xfffffc10, v7
	v_cvt_f32_f16_e32 v6, v6
	v_or_b32_e32 v5, v13, v5
	v_lshl_or_b32 v9, v7, 12, v0
	v_cmp_gt_i32_e32 vcc, 1, v7
	v_cndmask_b32_e32 v5, v9, v5, vcc
	v_and_b32_e32 v9, 7, v5
	v_cmp_lt_i32_e32 vcc, 5, v9
	v_cmp_eq_u32_e64 s[0:1], 3, v9
	v_lshrrev_b32_e32 v9, 2, v5
	v_cvt_f64_f32_e32 v[5:6], v6
	s_or_b64 vcc, s[0:1], vcc
	v_addc_co_u32_e32 v9, vcc, 0, v9, vcc
	v_mul_f64 v[5:6], v[5:6], s[2:3]
	v_cmp_gt_i32_e32 vcc, 31, v7
	v_cndmask_b32_e32 v9, v15, v9, vcc
	v_cmp_ne_u32_e32 vcc, 0, v0
	v_cndmask_b32_e64 v0, 0, 1, vcc
	v_lshl_or_b32 v0, v0, 9, v15
	v_cmp_eq_u32_e32 vcc, s10, v7
	v_cndmask_b32_e32 v0, v9, v0, vcc
	v_and_or_b32 v5, v6, s6, v5
	v_lshrrev_b32_e32 v7, 16, v17
	v_cmp_ne_u32_e32 vcc, 0, v5
	v_and_or_b32 v0, v7, s11, v0
	v_cndmask_b32_e64 v5, 0, 1, vcc
	v_lshrrev_b32_e32 v7, 8, v6
	v_bfe_u32 v9, v6, 20, 11
	v_and_or_b32 v5, v7, s7, v5
	v_sub_u32_e32 v11, 0x3f1, v9
	v_or_b32_e32 v7, 0x1000, v5
	v_med3_i32 v11, v11, 0, 13
	v_lshrrev_b32_e32 v13, v11, v7
	v_lshlrev_b32_e32 v11, v11, v13
	v_cmp_ne_u32_e32 vcc, v11, v7
	v_cndmask_b32_e64 v7, 0, 1, vcc
	v_add_u32_e32 v9, 0xfffffc10, v9
	v_or_b32_e32 v7, v13, v7
	v_lshl_or_b32 v11, v9, 12, v5
	v_cmp_gt_i32_e32 vcc, 1, v9
	v_cndmask_b32_e32 v7, v11, v7, vcc
	v_and_b32_e32 v11, 7, v7
	v_cmp_lt_i32_e32 vcc, 5, v11
	v_cmp_eq_u32_e64 s[0:1], 3, v11
	v_lshrrev_b32_e32 v11, 16, v1
	v_mul_f16_sdwa v13, v81, v11 dst_sel:DWORD dst_unused:UNUSED_PAD src0_sel:WORD_1 src1_sel:DWORD
	v_fma_f16 v13, v81, v1, v13
	v_cvt_f32_f16_e32 v13, v13
	v_lshrrev_b32_e32 v7, 2, v7
	s_or_b64 vcc, s[0:1], vcc
	v_addc_co_u32_e32 v7, vcc, 0, v7, vcc
	v_cmp_gt_i32_e32 vcc, 31, v9
	v_cndmask_b32_e32 v7, v15, v7, vcc
	v_cmp_ne_u32_e32 vcc, 0, v5
	v_cvt_f64_f32_e32 v[16:17], v13
	v_cndmask_b32_e64 v5, 0, 1, vcc
	v_lshl_or_b32 v5, v5, 9, v15
	v_cmp_eq_u32_e32 vcc, s10, v9
	v_cndmask_b32_e32 v5, v7, v5, vcc
	v_lshrrev_b32_e32 v6, 16, v6
	v_and_or_b32 v7, v6, s11, v5
	v_mul_f64 v[5:6], v[16:17], s[2:3]
	v_and_b32_e32 v0, 0xffff, v0
	v_lshl_or_b32 v0, v7, 16, v0
	v_mov_b32_e32 v7, s4
	v_add_co_u32_e32 v16, vcc, s5, v18
	v_addc_co_u32_e32 v17, vcc, v19, v7, vcc
	global_store_dword v[16:17], v0, off
	v_and_or_b32 v0, v6, s6, v5
	v_cmp_ne_u32_e32 vcc, 0, v0
	v_cndmask_b32_e64 v0, 0, 1, vcc
	v_lshrrev_b32_e32 v5, 8, v6
	v_bfe_u32 v7, v6, 20, 11
	v_and_or_b32 v5, v5, s7, v0
	v_sub_u32_e32 v9, 0x3f1, v7
	v_or_b32_e32 v0, 0x1000, v5
	v_med3_i32 v9, v9, 0, 13
	v_lshrrev_b32_e32 v13, v9, v0
	v_lshlrev_b32_e32 v9, v9, v13
	v_mul_f16_sdwa v1, v81, v1 dst_sel:DWORD dst_unused:UNUSED_PAD src0_sel:WORD_1 src1_sel:DWORD
	v_cmp_ne_u32_e32 vcc, v9, v0
	v_fma_f16 v1, v81, v11, -v1
	v_cndmask_b32_e64 v0, 0, 1, vcc
	v_add_u32_e32 v7, 0xfffffc10, v7
	v_cvt_f32_f16_e32 v1, v1
	v_or_b32_e32 v0, v13, v0
	v_lshl_or_b32 v9, v7, 12, v5
	v_cmp_gt_i32_e32 vcc, 1, v7
	v_cndmask_b32_e32 v0, v9, v0, vcc
	v_and_b32_e32 v9, 7, v0
	v_cmp_lt_i32_e32 vcc, 5, v9
	v_cmp_eq_u32_e64 s[0:1], 3, v9
	v_lshrrev_b32_e32 v9, 2, v0
	v_cvt_f64_f32_e32 v[0:1], v1
	s_or_b64 vcc, s[0:1], vcc
	v_addc_co_u32_e32 v9, vcc, 0, v9, vcc
	v_mul_f64 v[0:1], v[0:1], s[2:3]
	v_cmp_gt_i32_e32 vcc, 31, v7
	v_cndmask_b32_e32 v9, v15, v9, vcc
	v_cmp_ne_u32_e32 vcc, 0, v5
	v_cndmask_b32_e64 v5, 0, 1, vcc
	v_lshl_or_b32 v5, v5, 9, v15
	v_cmp_eq_u32_e32 vcc, s10, v7
	v_cndmask_b32_e32 v5, v9, v5, vcc
	v_and_or_b32 v0, v1, s6, v0
	v_lshrrev_b32_e32 v6, 16, v6
	v_cmp_ne_u32_e32 vcc, 0, v0
	v_and_or_b32 v7, v6, s11, v5
	v_cndmask_b32_e64 v0, 0, 1, vcc
	v_lshrrev_b32_e32 v5, 8, v1
	v_bfe_u32 v6, v1, 20, 11
	v_and_or_b32 v0, v5, s7, v0
	v_sub_u32_e32 v9, 0x3f1, v6
	v_or_b32_e32 v5, 0x1000, v0
	v_med3_i32 v9, v9, 0, 13
	v_lshrrev_b32_e32 v11, v9, v5
	v_lshlrev_b32_e32 v9, v9, v11
	v_cmp_ne_u32_e32 vcc, v9, v5
	v_cndmask_b32_e64 v5, 0, 1, vcc
	v_add_u32_e32 v6, 0xfffffc10, v6
	v_or_b32_e32 v5, v11, v5
	v_lshl_or_b32 v9, v6, 12, v0
	v_cmp_gt_i32_e32 vcc, 1, v6
	v_cndmask_b32_e32 v5, v9, v5, vcc
	v_and_b32_e32 v9, 7, v5
	v_cmp_lt_i32_e32 vcc, 5, v9
	v_cmp_eq_u32_e64 s[0:1], 3, v9
	v_lshrrev_b32_e32 v9, 16, v8
	v_lshrrev_b32_e32 v5, 2, v5
	s_or_b64 vcc, s[0:1], vcc
	v_mul_f16_sdwa v11, v77, v9 dst_sel:DWORD dst_unused:UNUSED_PAD src0_sel:WORD_1 src1_sel:DWORD
	v_addc_co_u32_e32 v5, vcc, 0, v5, vcc
	v_fma_f16 v11, v77, v8, v11
	v_cmp_gt_i32_e32 vcc, 31, v6
	v_cvt_f32_f16_e32 v11, v11
	v_cndmask_b32_e32 v5, v15, v5, vcc
	v_cmp_ne_u32_e32 vcc, 0, v0
	v_cndmask_b32_e64 v0, 0, 1, vcc
	v_lshl_or_b32 v0, v0, 9, v15
	v_cmp_eq_u32_e32 vcc, s10, v6
	v_cndmask_b32_e32 v0, v5, v0, vcc
	v_cvt_f64_f32_e32 v[5:6], v11
	v_lshrrev_b32_e32 v1, 16, v1
	v_and_or_b32 v11, v1, s11, v0
	v_and_b32_e32 v7, 0xffff, v7
	v_mul_f64 v[0:1], v[5:6], s[2:3]
	v_mov_b32_e32 v6, s4
	v_add_co_u32_e32 v5, vcc, s5, v16
	v_addc_co_u32_e32 v6, vcc, v17, v6, vcc
	v_lshl_or_b32 v7, v11, 16, v7
	global_store_dword v[5:6], v7, off
	v_and_or_b32 v0, v1, s6, v0
	v_cmp_ne_u32_e32 vcc, 0, v0
	v_cndmask_b32_e64 v0, 0, 1, vcc
	v_lshrrev_b32_e32 v7, 8, v1
	v_bfe_u32 v11, v1, 20, 11
	v_and_or_b32 v0, v7, s7, v0
	v_sub_u32_e32 v13, 0x3f1, v11
	v_or_b32_e32 v7, 0x1000, v0
	v_med3_i32 v13, v13, 0, 13
	v_lshrrev_b32_e32 v16, v13, v7
	v_mul_f16_sdwa v8, v77, v8 dst_sel:DWORD dst_unused:UNUSED_PAD src0_sel:WORD_1 src1_sel:DWORD
	v_lshlrev_b32_e32 v13, v13, v16
	v_fma_f16 v8, v77, v9, -v8
	v_cmp_ne_u32_e32 vcc, v13, v7
	v_cvt_f32_f16_e32 v8, v8
	v_cndmask_b32_e64 v7, 0, 1, vcc
	v_add_u32_e32 v11, 0xfffffc10, v11
	v_or_b32_e32 v7, v16, v7
	v_lshl_or_b32 v13, v11, 12, v0
	v_cmp_gt_i32_e32 vcc, 1, v11
	v_cndmask_b32_e32 v7, v13, v7, vcc
	v_and_b32_e32 v13, 7, v7
	v_lshrrev_b32_e32 v9, 2, v7
	v_cvt_f64_f32_e32 v[7:8], v8
	v_cmp_lt_i32_e32 vcc, 5, v13
	v_cmp_eq_u32_e64 s[0:1], 3, v13
	s_or_b64 vcc, s[0:1], vcc
	v_mul_f64 v[7:8], v[7:8], s[2:3]
	v_addc_co_u32_e32 v9, vcc, 0, v9, vcc
	v_cmp_gt_i32_e32 vcc, 31, v11
	v_cndmask_b32_e32 v9, v15, v9, vcc
	v_cmp_ne_u32_e32 vcc, 0, v0
	v_cndmask_b32_e64 v0, 0, 1, vcc
	v_lshl_or_b32 v0, v0, 9, v15
	v_cmp_eq_u32_e32 vcc, s10, v11
	v_cndmask_b32_e32 v0, v9, v0, vcc
	v_lshrrev_b32_e32 v1, 16, v1
	v_and_or_b32 v9, v1, s11, v0
	v_and_or_b32 v0, v8, s6, v7
	v_cmp_ne_u32_e32 vcc, 0, v0
	v_cndmask_b32_e64 v0, 0, 1, vcc
	v_lshrrev_b32_e32 v1, 8, v8
	v_bfe_u32 v7, v8, 20, 11
	v_and_or_b32 v0, v1, s7, v0
	v_sub_u32_e32 v11, 0x3f1, v7
	v_or_b32_e32 v1, 0x1000, v0
	v_med3_i32 v11, v11, 0, 13
	v_lshrrev_b32_e32 v13, v11, v1
	v_lshlrev_b32_e32 v11, v11, v13
	v_cmp_ne_u32_e32 vcc, v11, v1
	v_cndmask_b32_e64 v1, 0, 1, vcc
	v_add_u32_e32 v7, 0xfffffc10, v7
	v_or_b32_e32 v1, v13, v1
	v_lshl_or_b32 v11, v7, 12, v0
	v_cmp_gt_i32_e32 vcc, 1, v7
	v_cndmask_b32_e32 v1, v11, v1, vcc
	v_and_b32_e32 v11, 7, v1
	v_cmp_lt_i32_e32 vcc, 5, v11
	v_cmp_eq_u32_e64 s[0:1], 3, v11
	v_lshrrev_b32_e32 v11, 16, v2
	v_lshrrev_b32_e32 v1, 2, v1
	s_or_b64 vcc, s[0:1], vcc
	v_mul_f16_sdwa v13, v76, v11 dst_sel:DWORD dst_unused:UNUSED_PAD src0_sel:WORD_1 src1_sel:DWORD
	v_addc_co_u32_e32 v1, vcc, 0, v1, vcc
	v_fma_f16 v13, v76, v2, v13
	v_cmp_gt_i32_e32 vcc, 31, v7
	v_cvt_f32_f16_e32 v13, v13
	v_cndmask_b32_e32 v1, v15, v1, vcc
	v_cmp_ne_u32_e32 vcc, 0, v0
	v_cndmask_b32_e64 v0, 0, 1, vcc
	v_lshl_or_b32 v0, v0, 9, v15
	v_cmp_eq_u32_e32 vcc, s10, v7
	v_cndmask_b32_e32 v7, v1, v0, vcc
	v_cvt_f64_f32_e32 v[0:1], v13
	v_lshrrev_b32_e32 v8, 16, v8
	v_and_or_b32 v7, v8, s11, v7
	v_and_b32_e32 v8, 0xffff, v9
	v_mul_f64 v[0:1], v[0:1], s[2:3]
	v_lshl_or_b32 v7, v7, 16, v8
	v_mov_b32_e32 v8, s4
	v_add_co_u32_e32 v5, vcc, s5, v5
	v_addc_co_u32_e32 v6, vcc, v6, v8, vcc
	global_store_dword v[5:6], v7, off
	v_and_or_b32 v0, v1, s6, v0
	v_cmp_ne_u32_e32 vcc, 0, v0
	v_cndmask_b32_e64 v0, 0, 1, vcc
	v_lshrrev_b32_e32 v7, 8, v1
	v_bfe_u32 v8, v1, 20, 11
	v_and_or_b32 v0, v7, s7, v0
	v_sub_u32_e32 v9, 0x3f1, v8
	v_or_b32_e32 v7, 0x1000, v0
	v_med3_i32 v9, v9, 0, 13
	v_lshrrev_b32_e32 v13, v9, v7
	v_lshlrev_b32_e32 v9, v9, v13
	v_mul_f16_sdwa v2, v76, v2 dst_sel:DWORD dst_unused:UNUSED_PAD src0_sel:WORD_1 src1_sel:DWORD
	v_cmp_ne_u32_e32 vcc, v9, v7
	v_fma_f16 v2, v76, v11, -v2
	v_cndmask_b32_e64 v7, 0, 1, vcc
	v_add_u32_e32 v9, 0xfffffc10, v8
	v_cvt_f32_f16_e32 v2, v2
	v_or_b32_e32 v7, v13, v7
	v_lshl_or_b32 v8, v9, 12, v0
	v_cmp_gt_i32_e32 vcc, 1, v9
	v_cndmask_b32_e32 v7, v8, v7, vcc
	v_and_b32_e32 v8, 7, v7
	v_cmp_lt_i32_e32 vcc, 5, v8
	v_cmp_eq_u32_e64 s[0:1], 3, v8
	v_lshrrev_b32_e32 v11, 2, v7
	v_cvt_f64_f32_e32 v[7:8], v2
	s_or_b64 vcc, s[0:1], vcc
	v_addc_co_u32_e32 v2, vcc, 0, v11, vcc
	v_mul_f64 v[7:8], v[7:8], s[2:3]
	v_cmp_gt_i32_e32 vcc, 31, v9
	v_cndmask_b32_e32 v2, v15, v2, vcc
	v_cmp_ne_u32_e32 vcc, 0, v0
	v_cndmask_b32_e64 v0, 0, 1, vcc
	v_lshl_or_b32 v0, v0, 9, v15
	v_cmp_eq_u32_e32 vcc, s10, v9
	v_cndmask_b32_e32 v0, v2, v0, vcc
	v_lshrrev_b32_e32 v1, 16, v1
	v_and_or_b32 v2, v1, s11, v0
	v_and_or_b32 v0, v8, s6, v7
	v_cmp_ne_u32_e32 vcc, 0, v0
	v_cndmask_b32_e64 v0, 0, 1, vcc
	v_lshrrev_b32_e32 v1, 8, v8
	v_bfe_u32 v7, v8, 20, 11
	v_and_or_b32 v0, v1, s7, v0
	v_sub_u32_e32 v9, 0x3f1, v7
	v_or_b32_e32 v1, 0x1000, v0
	v_med3_i32 v9, v9, 0, 13
	v_lshrrev_b32_e32 v11, v9, v1
	v_lshlrev_b32_e32 v9, v9, v11
	v_cmp_ne_u32_e32 vcc, v9, v1
	v_cndmask_b32_e64 v1, 0, 1, vcc
	v_add_u32_e32 v7, 0xfffffc10, v7
	v_or_b32_e32 v1, v11, v1
	v_lshl_or_b32 v9, v7, 12, v0
	v_cmp_gt_i32_e32 vcc, 1, v7
	v_cndmask_b32_e32 v1, v9, v1, vcc
	v_and_b32_e32 v9, 7, v1
	v_cmp_lt_i32_e32 vcc, 5, v9
	v_cmp_eq_u32_e64 s[0:1], 3, v9
	v_lshrrev_b32_e32 v9, 16, v10
	v_lshrrev_b32_e32 v1, 2, v1
	s_or_b64 vcc, s[0:1], vcc
	v_mul_f16_sdwa v11, v75, v9 dst_sel:DWORD dst_unused:UNUSED_PAD src0_sel:WORD_1 src1_sel:DWORD
	v_addc_co_u32_e32 v1, vcc, 0, v1, vcc
	v_fma_f16 v11, v75, v10, v11
	v_cmp_gt_i32_e32 vcc, 31, v7
	v_cvt_f32_f16_e32 v11, v11
	v_cndmask_b32_e32 v1, v15, v1, vcc
	v_cmp_ne_u32_e32 vcc, 0, v0
	v_cndmask_b32_e64 v0, 0, 1, vcc
	v_lshl_or_b32 v0, v0, 9, v15
	v_cmp_eq_u32_e32 vcc, s10, v7
	v_cndmask_b32_e32 v7, v1, v0, vcc
	v_cvt_f64_f32_e32 v[0:1], v11
	v_lshrrev_b32_e32 v8, 16, v8
	v_and_or_b32 v7, v8, s11, v7
	v_and_b32_e32 v2, 0xffff, v2
	v_mul_f64 v[0:1], v[0:1], s[2:3]
	v_lshl_or_b32 v2, v7, 16, v2
	v_mov_b32_e32 v7, s4
	v_add_co_u32_e32 v5, vcc, s5, v5
	v_addc_co_u32_e32 v6, vcc, v6, v7, vcc
	global_store_dword v[5:6], v2, off
	v_and_or_b32 v0, v1, s6, v0
	v_cmp_ne_u32_e32 vcc, 0, v0
	v_cndmask_b32_e64 v0, 0, 1, vcc
	v_lshrrev_b32_e32 v2, 8, v1
	v_bfe_u32 v7, v1, 20, 11
	v_and_or_b32 v0, v2, s7, v0
	v_sub_u32_e32 v8, 0x3f1, v7
	v_or_b32_e32 v2, 0x1000, v0
	v_med3_i32 v8, v8, 0, 13
	v_lshrrev_b32_e32 v11, v8, v2
	v_lshlrev_b32_e32 v8, v8, v11
	v_cmp_ne_u32_e32 vcc, v8, v2
	v_mul_f16_sdwa v8, v75, v10 dst_sel:DWORD dst_unused:UNUSED_PAD src0_sel:WORD_1 src1_sel:DWORD
	v_cndmask_b32_e64 v2, 0, 1, vcc
	v_fma_f16 v8, v75, v9, -v8
	v_or_b32_e32 v2, v11, v2
	v_add_u32_e32 v11, 0xfffffc10, v7
	v_cvt_f32_f16_e32 v8, v8
	v_lshl_or_b32 v7, v11, 12, v0
	v_cmp_gt_i32_e32 vcc, 1, v11
	v_cndmask_b32_e32 v2, v7, v2, vcc
	v_and_b32_e32 v7, 7, v2
	v_cmp_lt_i32_e32 vcc, 5, v7
	v_cmp_eq_u32_e64 s[0:1], 3, v7
	v_cvt_f64_f32_e32 v[7:8], v8
	v_lshrrev_b32_e32 v2, 2, v2
	s_or_b64 vcc, s[0:1], vcc
	v_addc_co_u32_e32 v2, vcc, 0, v2, vcc
	v_mul_f64 v[7:8], v[7:8], s[2:3]
	v_cmp_gt_i32_e32 vcc, 31, v11
	v_cndmask_b32_e32 v2, v15, v2, vcc
	v_cmp_ne_u32_e32 vcc, 0, v0
	v_cndmask_b32_e64 v0, 0, 1, vcc
	v_lshl_or_b32 v0, v0, 9, v15
	v_cmp_eq_u32_e32 vcc, s10, v11
	v_cndmask_b32_e32 v0, v2, v0, vcc
	v_lshrrev_b32_e32 v1, 16, v1
	v_and_or_b32 v2, v1, s11, v0
	v_and_or_b32 v0, v8, s6, v7
	v_cmp_ne_u32_e32 vcc, 0, v0
	v_cndmask_b32_e64 v0, 0, 1, vcc
	v_lshrrev_b32_e32 v1, 8, v8
	v_bfe_u32 v7, v8, 20, 11
	v_and_or_b32 v0, v1, s7, v0
	v_sub_u32_e32 v9, 0x3f1, v7
	v_or_b32_e32 v1, 0x1000, v0
	v_med3_i32 v9, v9, 0, 13
	v_lshrrev_b32_e32 v10, v9, v1
	v_lshlrev_b32_e32 v9, v9, v10
	v_cmp_ne_u32_e32 vcc, v9, v1
	v_cndmask_b32_e64 v1, 0, 1, vcc
	v_add_u32_e32 v7, 0xfffffc10, v7
	v_or_b32_e32 v1, v10, v1
	v_lshl_or_b32 v9, v7, 12, v0
	v_cmp_gt_i32_e32 vcc, 1, v7
	v_cndmask_b32_e32 v1, v9, v1, vcc
	v_and_b32_e32 v9, 7, v1
	v_cmp_lt_i32_e32 vcc, 5, v9
	v_cmp_eq_u32_e64 s[0:1], 3, v9
	v_lshrrev_b32_e32 v9, 16, v3
	v_lshrrev_b32_e32 v1, 2, v1
	s_or_b64 vcc, s[0:1], vcc
	v_mul_f16_sdwa v10, v74, v9 dst_sel:DWORD dst_unused:UNUSED_PAD src0_sel:WORD_1 src1_sel:DWORD
	v_addc_co_u32_e32 v1, vcc, 0, v1, vcc
	v_fma_f16 v10, v74, v3, v10
	v_cmp_gt_i32_e32 vcc, 31, v7
	v_cvt_f32_f16_e32 v10, v10
	v_cndmask_b32_e32 v1, v15, v1, vcc
	v_cmp_ne_u32_e32 vcc, 0, v0
	v_cndmask_b32_e64 v0, 0, 1, vcc
	v_lshl_or_b32 v0, v0, 9, v15
	v_cmp_eq_u32_e32 vcc, s10, v7
	v_cndmask_b32_e32 v7, v1, v0, vcc
	v_cvt_f64_f32_e32 v[0:1], v10
	v_lshrrev_b32_e32 v8, 16, v8
	v_and_or_b32 v7, v8, s11, v7
	v_and_b32_e32 v2, 0xffff, v2
	v_mul_f64 v[0:1], v[0:1], s[2:3]
	v_lshl_or_b32 v2, v7, 16, v2
	v_mov_b32_e32 v7, s4
	v_add_co_u32_e32 v5, vcc, s5, v5
	v_addc_co_u32_e32 v6, vcc, v6, v7, vcc
	global_store_dword v[5:6], v2, off
	v_and_or_b32 v0, v1, s6, v0
	v_cmp_ne_u32_e32 vcc, 0, v0
	v_cndmask_b32_e64 v0, 0, 1, vcc
	v_lshrrev_b32_e32 v2, 8, v1
	v_bfe_u32 v7, v1, 20, 11
	v_and_or_b32 v0, v2, s7, v0
	v_sub_u32_e32 v8, 0x3f1, v7
	v_or_b32_e32 v2, 0x1000, v0
	v_med3_i32 v8, v8, 0, 13
	v_lshrrev_b32_e32 v10, v8, v2
	v_lshlrev_b32_e32 v8, v8, v10
	v_mul_f16_sdwa v3, v74, v3 dst_sel:DWORD dst_unused:UNUSED_PAD src0_sel:WORD_1 src1_sel:DWORD
	v_cmp_ne_u32_e32 vcc, v8, v2
	v_fma_f16 v3, v74, v9, -v3
	v_cndmask_b32_e64 v2, 0, 1, vcc
	v_add_u32_e32 v7, 0xfffffc10, v7
	v_cvt_f32_f16_e32 v3, v3
	v_or_b32_e32 v2, v10, v2
	v_lshl_or_b32 v8, v7, 12, v0
	v_cmp_gt_i32_e32 vcc, 1, v7
	v_cndmask_b32_e32 v2, v8, v2, vcc
	v_and_b32_e32 v8, 7, v2
	v_cmp_lt_i32_e32 vcc, 5, v8
	v_cmp_eq_u32_e64 s[0:1], 3, v8
	v_lshrrev_b32_e32 v8, 2, v2
	v_cvt_f64_f32_e32 v[2:3], v3
	s_or_b64 vcc, s[0:1], vcc
	v_addc_co_u32_e32 v8, vcc, 0, v8, vcc
	v_mul_f64 v[2:3], v[2:3], s[2:3]
	v_cmp_gt_i32_e32 vcc, 31, v7
	v_cndmask_b32_e32 v8, v15, v8, vcc
	v_cmp_ne_u32_e32 vcc, 0, v0
	v_cndmask_b32_e64 v0, 0, 1, vcc
	v_lshl_or_b32 v0, v0, 9, v15
	v_cmp_eq_u32_e32 vcc, s10, v7
	v_cndmask_b32_e32 v0, v8, v0, vcc
	v_lshrrev_b32_e32 v1, 16, v1
	v_and_or_b32 v7, v1, s11, v0
	v_and_or_b32 v0, v3, s6, v2
	v_cmp_ne_u32_e32 vcc, 0, v0
	v_cndmask_b32_e64 v0, 0, 1, vcc
	v_lshrrev_b32_e32 v1, 8, v3
	v_bfe_u32 v2, v3, 20, 11
	v_and_or_b32 v0, v1, s7, v0
	v_sub_u32_e32 v8, 0x3f1, v2
	v_or_b32_e32 v1, 0x1000, v0
	v_med3_i32 v8, v8, 0, 13
	v_lshrrev_b32_e32 v9, v8, v1
	v_lshlrev_b32_e32 v8, v8, v9
	v_cmp_ne_u32_e32 vcc, v8, v1
	v_cndmask_b32_e64 v1, 0, 1, vcc
	v_add_u32_e32 v2, 0xfffffc10, v2
	v_or_b32_e32 v1, v9, v1
	v_lshl_or_b32 v8, v2, 12, v0
	v_cmp_gt_i32_e32 vcc, 1, v2
	v_cndmask_b32_e32 v1, v8, v1, vcc
	v_and_b32_e32 v8, 7, v1
	v_cmp_lt_i32_e32 vcc, 5, v8
	v_cmp_eq_u32_e64 s[0:1], 3, v8
	v_lshrrev_b32_e32 v8, 16, v12
	v_lshrrev_b32_e32 v1, 2, v1
	s_or_b64 vcc, s[0:1], vcc
	v_mul_f16_sdwa v9, v73, v8 dst_sel:DWORD dst_unused:UNUSED_PAD src0_sel:WORD_1 src1_sel:DWORD
	v_addc_co_u32_e32 v1, vcc, 0, v1, vcc
	v_fma_f16 v9, v73, v12, v9
	v_cmp_gt_i32_e32 vcc, 31, v2
	v_cvt_f32_f16_e32 v9, v9
	v_cndmask_b32_e32 v1, v15, v1, vcc
	v_cmp_ne_u32_e32 vcc, 0, v0
	v_cndmask_b32_e64 v0, 0, 1, vcc
	v_lshl_or_b32 v0, v0, 9, v15
	v_cmp_eq_u32_e32 vcc, s10, v2
	v_cndmask_b32_e32 v2, v1, v0, vcc
	v_cvt_f64_f32_e32 v[0:1], v9
	v_lshrrev_b32_e32 v3, 16, v3
	v_and_or_b32 v2, v3, s11, v2
	v_and_b32_e32 v3, 0xffff, v7
	v_mul_f64 v[0:1], v[0:1], s[2:3]
	v_lshl_or_b32 v7, v2, 16, v3
	v_mov_b32_e32 v3, s4
	v_add_co_u32_e32 v2, vcc, s5, v5
	v_addc_co_u32_e32 v3, vcc, v6, v3, vcc
	global_store_dword v[2:3], v7, off
	v_and_or_b32 v0, v1, s6, v0
	v_cmp_ne_u32_e32 vcc, 0, v0
	v_cndmask_b32_e64 v0, 0, 1, vcc
	v_lshrrev_b32_e32 v5, 8, v1
	v_bfe_u32 v6, v1, 20, 11
	v_and_or_b32 v0, v5, s7, v0
	v_sub_u32_e32 v7, 0x3f1, v6
	v_or_b32_e32 v5, 0x1000, v0
	v_med3_i32 v7, v7, 0, 13
	v_lshrrev_b32_e32 v9, v7, v5
	v_lshlrev_b32_e32 v7, v7, v9
	v_cmp_ne_u32_e32 vcc, v7, v5
	v_cndmask_b32_e64 v5, 0, 1, vcc
	v_or_b32_e32 v5, v9, v5
	v_mul_f16_sdwa v9, v73, v12 dst_sel:DWORD dst_unused:UNUSED_PAD src0_sel:WORD_1 src1_sel:DWORD
	v_fma_f16 v8, v73, v8, -v9
	v_add_u32_e32 v7, 0xfffffc10, v6
	v_cvt_f32_f16_e32 v8, v8
	v_lshl_or_b32 v6, v7, 12, v0
	v_cmp_gt_i32_e32 vcc, 1, v7
	v_cndmask_b32_e32 v5, v6, v5, vcc
	v_and_b32_e32 v6, 7, v5
	v_cmp_lt_i32_e32 vcc, 5, v6
	v_cmp_eq_u32_e64 s[0:1], 3, v6
	v_lshrrev_b32_e32 v9, 2, v5
	v_cvt_f64_f32_e32 v[5:6], v8
	s_or_b64 vcc, s[0:1], vcc
	v_addc_co_u32_e32 v8, vcc, 0, v9, vcc
	v_mul_f64 v[5:6], v[5:6], s[2:3]
	v_cmp_gt_i32_e32 vcc, 31, v7
	v_cndmask_b32_e32 v8, v15, v8, vcc
	v_cmp_ne_u32_e32 vcc, 0, v0
	v_cndmask_b32_e64 v0, 0, 1, vcc
	v_lshl_or_b32 v0, v0, 9, v15
	v_cmp_eq_u32_e32 vcc, s10, v7
	v_cndmask_b32_e32 v0, v8, v0, vcc
	v_lshrrev_b32_e32 v1, 16, v1
	v_and_or_b32 v7, v1, s11, v0
	v_and_or_b32 v0, v6, s6, v5
	v_cmp_ne_u32_e32 vcc, 0, v0
	v_cndmask_b32_e64 v0, 0, 1, vcc
	v_lshrrev_b32_e32 v1, 8, v6
	v_bfe_u32 v5, v6, 20, 11
	v_and_or_b32 v0, v1, s7, v0
	v_sub_u32_e32 v8, 0x3f1, v5
	v_or_b32_e32 v1, 0x1000, v0
	v_med3_i32 v8, v8, 0, 13
	v_lshrrev_b32_e32 v9, v8, v1
	v_lshlrev_b32_e32 v8, v8, v9
	v_cmp_ne_u32_e32 vcc, v8, v1
	v_cndmask_b32_e64 v1, 0, 1, vcc
	v_add_u32_e32 v5, 0xfffffc10, v5
	v_or_b32_e32 v1, v9, v1
	v_lshl_or_b32 v8, v5, 12, v0
	v_cmp_gt_i32_e32 vcc, 1, v5
	v_cndmask_b32_e32 v1, v8, v1, vcc
	v_and_b32_e32 v8, 7, v1
	v_cmp_lt_i32_e32 vcc, 5, v8
	v_cmp_eq_u32_e64 s[0:1], 3, v8
	v_lshrrev_b32_e32 v8, 16, v4
	v_lshrrev_b32_e32 v1, 2, v1
	s_or_b64 vcc, s[0:1], vcc
	v_mul_f16_sdwa v9, v72, v8 dst_sel:DWORD dst_unused:UNUSED_PAD src0_sel:WORD_1 src1_sel:DWORD
	v_addc_co_u32_e32 v1, vcc, 0, v1, vcc
	v_fma_f16 v9, v72, v4, v9
	v_cmp_gt_i32_e32 vcc, 31, v5
	v_cvt_f32_f16_e32 v9, v9
	v_cndmask_b32_e32 v1, v15, v1, vcc
	v_cmp_ne_u32_e32 vcc, 0, v0
	v_cndmask_b32_e64 v0, 0, 1, vcc
	v_lshl_or_b32 v0, v0, 9, v15
	v_cmp_eq_u32_e32 vcc, s10, v5
	v_cndmask_b32_e32 v5, v1, v0, vcc
	v_cvt_f64_f32_e32 v[0:1], v9
	v_lshrrev_b32_e32 v6, 16, v6
	v_and_or_b32 v5, v6, s11, v5
	v_and_b32_e32 v6, 0xffff, v7
	v_mul_f64 v[0:1], v[0:1], s[2:3]
	v_lshl_or_b32 v5, v5, 16, v6
	v_mov_b32_e32 v6, s4
	v_add_co_u32_e32 v2, vcc, s5, v2
	v_addc_co_u32_e32 v3, vcc, v3, v6, vcc
	global_store_dword v[2:3], v5, off
	v_and_or_b32 v0, v1, s6, v0
	v_cmp_ne_u32_e32 vcc, 0, v0
	v_cndmask_b32_e64 v0, 0, 1, vcc
	v_lshrrev_b32_e32 v5, 8, v1
	v_bfe_u32 v6, v1, 20, 11
	v_and_or_b32 v0, v5, s7, v0
	v_sub_u32_e32 v7, 0x3f1, v6
	v_or_b32_e32 v5, 0x1000, v0
	v_med3_i32 v7, v7, 0, 13
	v_lshrrev_b32_e32 v9, v7, v5
	v_lshlrev_b32_e32 v7, v7, v9
	v_mul_f16_sdwa v4, v72, v4 dst_sel:DWORD dst_unused:UNUSED_PAD src0_sel:WORD_1 src1_sel:DWORD
	v_cmp_ne_u32_e32 vcc, v7, v5
	v_fma_f16 v4, v72, v8, -v4
	v_cndmask_b32_e64 v5, 0, 1, vcc
	v_add_u32_e32 v6, 0xfffffc10, v6
	v_cvt_f32_f16_e32 v4, v4
	v_or_b32_e32 v5, v9, v5
	v_lshl_or_b32 v7, v6, 12, v0
	v_cmp_gt_i32_e32 vcc, 1, v6
	v_cndmask_b32_e32 v5, v7, v5, vcc
	v_and_b32_e32 v7, 7, v5
	v_cmp_lt_i32_e32 vcc, 5, v7
	v_cmp_eq_u32_e64 s[0:1], 3, v7
	v_lshrrev_b32_e32 v7, 2, v5
	v_cvt_f64_f32_e32 v[4:5], v4
	s_or_b64 vcc, s[0:1], vcc
	v_addc_co_u32_e32 v7, vcc, 0, v7, vcc
	v_mul_f64 v[4:5], v[4:5], s[2:3]
	v_cmp_gt_i32_e32 vcc, 31, v6
	v_cndmask_b32_e32 v7, v15, v7, vcc
	v_cmp_ne_u32_e32 vcc, 0, v0
	v_cndmask_b32_e64 v0, 0, 1, vcc
	v_lshl_or_b32 v0, v0, 9, v15
	v_cmp_eq_u32_e32 vcc, s10, v6
	v_cndmask_b32_e32 v0, v7, v0, vcc
	v_lshrrev_b32_e32 v1, 16, v1
	v_and_or_b32 v6, v1, s11, v0
	v_and_or_b32 v0, v5, s6, v4
	v_cmp_ne_u32_e32 vcc, 0, v0
	v_cndmask_b32_e64 v0, 0, 1, vcc
	v_lshrrev_b32_e32 v1, 8, v5
	v_bfe_u32 v4, v5, 20, 11
	v_and_or_b32 v0, v1, s7, v0
	v_sub_u32_e32 v7, 0x3f1, v4
	v_or_b32_e32 v1, 0x1000, v0
	v_med3_i32 v7, v7, 0, 13
	v_lshrrev_b32_e32 v8, v7, v1
	v_lshlrev_b32_e32 v7, v7, v8
	v_cmp_ne_u32_e32 vcc, v7, v1
	v_cndmask_b32_e64 v1, 0, 1, vcc
	v_add_u32_e32 v4, 0xfffffc10, v4
	v_or_b32_e32 v1, v8, v1
	v_lshl_or_b32 v7, v4, 12, v0
	v_cmp_gt_i32_e32 vcc, 1, v4
	v_cndmask_b32_e32 v1, v7, v1, vcc
	v_and_b32_e32 v7, 7, v1
	v_cmp_lt_i32_e32 vcc, 5, v7
	v_cmp_eq_u32_e64 s[0:1], 3, v7
	v_lshrrev_b32_e32 v7, 16, v14
	v_lshrrev_b32_e32 v1, 2, v1
	s_or_b64 vcc, s[0:1], vcc
	v_mul_f16_sdwa v8, v71, v7 dst_sel:DWORD dst_unused:UNUSED_PAD src0_sel:WORD_1 src1_sel:DWORD
	v_addc_co_u32_e32 v1, vcc, 0, v1, vcc
	v_fma_f16 v8, v71, v14, v8
	v_cmp_gt_i32_e32 vcc, 31, v4
	v_cvt_f32_f16_e32 v8, v8
	v_cndmask_b32_e32 v1, v15, v1, vcc
	v_cmp_ne_u32_e32 vcc, 0, v0
	v_cndmask_b32_e64 v0, 0, 1, vcc
	v_lshl_or_b32 v0, v0, 9, v15
	v_cmp_eq_u32_e32 vcc, s10, v4
	v_cndmask_b32_e32 v4, v1, v0, vcc
	v_cvt_f64_f32_e32 v[0:1], v8
	v_lshrrev_b32_e32 v5, 16, v5
	v_and_or_b32 v4, v5, s11, v4
	v_and_b32_e32 v5, 0xffff, v6
	v_mul_f64 v[0:1], v[0:1], s[2:3]
	v_lshl_or_b32 v4, v4, 16, v5
	v_mov_b32_e32 v5, s4
	v_add_co_u32_e32 v2, vcc, s5, v2
	v_addc_co_u32_e32 v3, vcc, v3, v5, vcc
	global_store_dword v[2:3], v4, off
	v_and_or_b32 v0, v1, s6, v0
	v_cmp_ne_u32_e32 vcc, 0, v0
	v_cndmask_b32_e64 v0, 0, 1, vcc
	v_lshrrev_b32_e32 v4, 8, v1
	v_bfe_u32 v5, v1, 20, 11
	v_and_or_b32 v0, v4, s7, v0
	v_sub_u32_e32 v6, 0x3f1, v5
	v_or_b32_e32 v4, 0x1000, v0
	v_med3_i32 v6, v6, 0, 13
	v_lshrrev_b32_e32 v8, v6, v4
	v_lshlrev_b32_e32 v6, v6, v8
	v_cmp_ne_u32_e32 vcc, v6, v4
	v_cndmask_b32_e64 v4, 0, 1, vcc
	v_or_b32_e32 v4, v8, v4
	v_mul_f16_sdwa v8, v71, v14 dst_sel:DWORD dst_unused:UNUSED_PAD src0_sel:WORD_1 src1_sel:DWORD
	v_fma_f16 v7, v71, v7, -v8
	v_add_u32_e32 v6, 0xfffffc10, v5
	v_cvt_f32_f16_e32 v7, v7
	v_lshl_or_b32 v5, v6, 12, v0
	v_cmp_gt_i32_e32 vcc, 1, v6
	v_cndmask_b32_e32 v4, v5, v4, vcc
	v_and_b32_e32 v5, 7, v4
	v_cmp_lt_i32_e32 vcc, 5, v5
	v_cmp_eq_u32_e64 s[0:1], 3, v5
	v_lshrrev_b32_e32 v8, 2, v4
	v_cvt_f64_f32_e32 v[4:5], v7
	s_or_b64 vcc, s[0:1], vcc
	v_addc_co_u32_e32 v7, vcc, 0, v8, vcc
	v_mul_f64 v[4:5], v[4:5], s[2:3]
	v_cmp_gt_i32_e32 vcc, 31, v6
	v_cndmask_b32_e32 v7, v15, v7, vcc
	v_cmp_ne_u32_e32 vcc, 0, v0
	v_cndmask_b32_e64 v0, 0, 1, vcc
	v_lshl_or_b32 v0, v0, 9, v15
	v_cmp_eq_u32_e32 vcc, s10, v6
	v_cndmask_b32_e32 v0, v7, v0, vcc
	v_lshrrev_b32_e32 v1, 16, v1
	v_and_or_b32 v0, v1, s11, v0
	v_and_or_b32 v1, v5, s6, v4
	v_cmp_ne_u32_e32 vcc, 0, v1
	v_cndmask_b32_e64 v1, 0, 1, vcc
	v_lshrrev_b32_e32 v4, 8, v5
	v_bfe_u32 v6, v5, 20, 11
	v_and_or_b32 v1, v4, s7, v1
	v_sub_u32_e32 v7, 0x3f1, v6
	v_or_b32_e32 v4, 0x1000, v1
	v_med3_i32 v7, v7, 0, 13
	v_lshrrev_b32_e32 v8, v7, v4
	v_lshlrev_b32_e32 v7, v7, v8
	v_cmp_ne_u32_e32 vcc, v7, v4
	v_cndmask_b32_e64 v4, 0, 1, vcc
	v_add_u32_e32 v6, 0xfffffc10, v6
	v_or_b32_e32 v4, v8, v4
	v_lshl_or_b32 v7, v6, 12, v1
	v_cmp_gt_i32_e32 vcc, 1, v6
	v_cndmask_b32_e32 v4, v7, v4, vcc
	v_and_b32_e32 v7, 7, v4
	v_cmp_lt_i32_e32 vcc, 5, v7
	v_cmp_eq_u32_e64 s[0:1], 3, v7
	v_lshrrev_b32_e32 v4, 2, v4
	s_or_b64 vcc, s[0:1], vcc
	v_addc_co_u32_e32 v4, vcc, 0, v4, vcc
	v_cmp_gt_i32_e32 vcc, 31, v6
	v_cndmask_b32_e32 v4, v15, v4, vcc
	v_cmp_ne_u32_e32 vcc, 0, v1
	v_cndmask_b32_e64 v1, 0, 1, vcc
	v_lshl_or_b32 v1, v1, 9, v15
	v_cmp_eq_u32_e32 vcc, s10, v6
	v_cndmask_b32_e32 v1, v4, v1, vcc
	v_lshrrev_b32_e32 v4, 16, v5
	v_and_or_b32 v1, v4, s11, v1
	v_and_b32_e32 v0, 0xffff, v0
	v_lshl_or_b32 v4, v1, 16, v0
	v_mov_b32_e32 v1, s4
	v_add_co_u32_e32 v0, vcc, s5, v2
	v_addc_co_u32_e32 v1, vcc, v3, v1, vcc
	global_store_dword v[0:1], v4, off
.LBB0_2:
	s_endpgm
	.section	.rodata,"a",@progbits
	.p2align	6, 0x0
	.amdhsa_kernel bluestein_single_fwd_len3600_dim1_half_op_CI_CI
		.amdhsa_group_segment_fixed_size 14400
		.amdhsa_private_segment_fixed_size 0
		.amdhsa_kernarg_size 104
		.amdhsa_user_sgpr_count 6
		.amdhsa_user_sgpr_private_segment_buffer 1
		.amdhsa_user_sgpr_dispatch_ptr 0
		.amdhsa_user_sgpr_queue_ptr 0
		.amdhsa_user_sgpr_kernarg_segment_ptr 1
		.amdhsa_user_sgpr_dispatch_id 0
		.amdhsa_user_sgpr_flat_scratch_init 0
		.amdhsa_user_sgpr_private_segment_size 0
		.amdhsa_uses_dynamic_stack 0
		.amdhsa_system_sgpr_private_segment_wavefront_offset 0
		.amdhsa_system_sgpr_workgroup_id_x 1
		.amdhsa_system_sgpr_workgroup_id_y 0
		.amdhsa_system_sgpr_workgroup_id_z 0
		.amdhsa_system_sgpr_workgroup_info 0
		.amdhsa_system_vgpr_workitem_id 0
		.amdhsa_next_free_vgpr 212
		.amdhsa_next_free_sgpr 24
		.amdhsa_reserve_vcc 1
		.amdhsa_reserve_flat_scratch 0
		.amdhsa_float_round_mode_32 0
		.amdhsa_float_round_mode_16_64 0
		.amdhsa_float_denorm_mode_32 3
		.amdhsa_float_denorm_mode_16_64 3
		.amdhsa_dx10_clamp 1
		.amdhsa_ieee_mode 1
		.amdhsa_fp16_overflow 0
		.amdhsa_exception_fp_ieee_invalid_op 0
		.amdhsa_exception_fp_denorm_src 0
		.amdhsa_exception_fp_ieee_div_zero 0
		.amdhsa_exception_fp_ieee_overflow 0
		.amdhsa_exception_fp_ieee_underflow 0
		.amdhsa_exception_fp_ieee_inexact 0
		.amdhsa_exception_int_div_zero 0
	.end_amdhsa_kernel
	.text
.Lfunc_end0:
	.size	bluestein_single_fwd_len3600_dim1_half_op_CI_CI, .Lfunc_end0-bluestein_single_fwd_len3600_dim1_half_op_CI_CI
                                        ; -- End function
	.section	.AMDGPU.csdata,"",@progbits
; Kernel info:
; codeLenInByte = 47016
; NumSgprs: 28
; NumVgprs: 212
; ScratchSize: 0
; MemoryBound: 0
; FloatMode: 240
; IeeeMode: 1
; LDSByteSize: 14400 bytes/workgroup (compile time only)
; SGPRBlocks: 3
; VGPRBlocks: 52
; NumSGPRsForWavesPerEU: 28
; NumVGPRsForWavesPerEU: 212
; Occupancy: 1
; WaveLimiterHint : 1
; COMPUTE_PGM_RSRC2:SCRATCH_EN: 0
; COMPUTE_PGM_RSRC2:USER_SGPR: 6
; COMPUTE_PGM_RSRC2:TRAP_HANDLER: 0
; COMPUTE_PGM_RSRC2:TGID_X_EN: 1
; COMPUTE_PGM_RSRC2:TGID_Y_EN: 0
; COMPUTE_PGM_RSRC2:TGID_Z_EN: 0
; COMPUTE_PGM_RSRC2:TIDIG_COMP_CNT: 0
	.type	__hip_cuid_dd8498c6b8021c6b,@object ; @__hip_cuid_dd8498c6b8021c6b
	.section	.bss,"aw",@nobits
	.globl	__hip_cuid_dd8498c6b8021c6b
__hip_cuid_dd8498c6b8021c6b:
	.byte	0                               ; 0x0
	.size	__hip_cuid_dd8498c6b8021c6b, 1

	.ident	"AMD clang version 19.0.0git (https://github.com/RadeonOpenCompute/llvm-project roc-6.4.0 25133 c7fe45cf4b819c5991fe208aaa96edf142730f1d)"
	.section	".note.GNU-stack","",@progbits
	.addrsig
	.addrsig_sym __hip_cuid_dd8498c6b8021c6b
	.amdgpu_metadata
---
amdhsa.kernels:
  - .args:
      - .actual_access:  read_only
        .address_space:  global
        .offset:         0
        .size:           8
        .value_kind:     global_buffer
      - .actual_access:  read_only
        .address_space:  global
        .offset:         8
        .size:           8
        .value_kind:     global_buffer
      - .actual_access:  read_only
        .address_space:  global
        .offset:         16
        .size:           8
        .value_kind:     global_buffer
      - .actual_access:  read_only
        .address_space:  global
        .offset:         24
        .size:           8
        .value_kind:     global_buffer
      - .actual_access:  read_only
        .address_space:  global
        .offset:         32
        .size:           8
        .value_kind:     global_buffer
      - .offset:         40
        .size:           8
        .value_kind:     by_value
      - .address_space:  global
        .offset:         48
        .size:           8
        .value_kind:     global_buffer
      - .address_space:  global
        .offset:         56
        .size:           8
        .value_kind:     global_buffer
      - .address_space:  global
        .offset:         64
        .size:           8
        .value_kind:     global_buffer
      - .address_space:  global
        .offset:         72
        .size:           8
        .value_kind:     global_buffer
      - .offset:         80
        .size:           4
        .value_kind:     by_value
      - .address_space:  global
        .offset:         88
        .size:           8
        .value_kind:     global_buffer
      - .address_space:  global
        .offset:         96
        .size:           8
        .value_kind:     global_buffer
    .group_segment_fixed_size: 14400
    .kernarg_segment_align: 8
    .kernarg_segment_size: 104
    .language:       OpenCL C
    .language_version:
      - 2
      - 0
    .max_flat_workgroup_size: 120
    .name:           bluestein_single_fwd_len3600_dim1_half_op_CI_CI
    .private_segment_fixed_size: 0
    .sgpr_count:     28
    .sgpr_spill_count: 0
    .symbol:         bluestein_single_fwd_len3600_dim1_half_op_CI_CI.kd
    .uniform_work_group_size: 1
    .uses_dynamic_stack: false
    .vgpr_count:     212
    .vgpr_spill_count: 0
    .wavefront_size: 64
amdhsa.target:   amdgcn-amd-amdhsa--gfx906
amdhsa.version:
  - 1
  - 2
...

	.end_amdgpu_metadata
